;; amdgpu-corpus repo=ROCm/rocFFT kind=compiled arch=gfx950 opt=O3
	.text
	.amdgcn_target "amdgcn-amd-amdhsa--gfx950"
	.amdhsa_code_object_version 6
	.protected	fft_rtc_back_len1785_factors_17_3_5_7_wgs_119_tpt_119_halfLds_half_op_CI_CI_sbrr_dirReg ; -- Begin function fft_rtc_back_len1785_factors_17_3_5_7_wgs_119_tpt_119_halfLds_half_op_CI_CI_sbrr_dirReg
	.globl	fft_rtc_back_len1785_factors_17_3_5_7_wgs_119_tpt_119_halfLds_half_op_CI_CI_sbrr_dirReg
	.p2align	8
	.type	fft_rtc_back_len1785_factors_17_3_5_7_wgs_119_tpt_119_halfLds_half_op_CI_CI_sbrr_dirReg,@function
fft_rtc_back_len1785_factors_17_3_5_7_wgs_119_tpt_119_halfLds_half_op_CI_CI_sbrr_dirReg: ; @fft_rtc_back_len1785_factors_17_3_5_7_wgs_119_tpt_119_halfLds_half_op_CI_CI_sbrr_dirReg
; %bb.0:
	s_load_dwordx4 s[12:15], s[0:1], 0x18
	s_load_dwordx4 s[4:7], s[0:1], 0x0
	;; [unrolled: 1-line block ×3, first 2 shown]
	v_mul_u32_u24_e32 v1, 0x227, v0
	v_add_u32_sdwa v10, s2, v1 dst_sel:DWORD dst_unused:UNUSED_PAD src0_sel:DWORD src1_sel:WORD_1
	s_waitcnt lgkmcnt(0)
	s_load_dwordx2 s[18:19], s[12:13], 0x0
	s_load_dwordx2 s[16:17], s[14:15], 0x0
	v_mov_b32_e32 v8, 0
	v_cmp_lt_u64_e64 s[2:3], s[6:7], 2
	v_mov_b32_e32 v11, v8
	s_and_b64 vcc, exec, s[2:3]
	v_mov_b64_e32 v[6:7], 0
	s_cbranch_vccnz .LBB0_8
; %bb.1:
	s_load_dwordx2 s[2:3], s[0:1], 0x10
	s_add_u32 s20, s14, 8
	s_addc_u32 s21, s15, 0
	s_add_u32 s22, s12, 8
	s_addc_u32 s23, s13, 0
	s_waitcnt lgkmcnt(0)
	s_add_u32 s24, s2, 8
	v_mov_b64_e32 v[6:7], 0
	s_addc_u32 s25, s3, 0
	s_mov_b64 s[26:27], 1
	v_mov_b64_e32 v[2:3], v[6:7]
.LBB0_2:                                ; =>This Inner Loop Header: Depth=1
	s_load_dwordx2 s[28:29], s[24:25], 0x0
                                        ; implicit-def: $vgpr4_vgpr5
	s_waitcnt lgkmcnt(0)
	v_or_b32_e32 v9, s29, v11
	v_cmp_ne_u64_e32 vcc, 0, v[8:9]
	s_and_saveexec_b64 s[2:3], vcc
	s_xor_b64 s[30:31], exec, s[2:3]
	s_cbranch_execz .LBB0_4
; %bb.3:                                ;   in Loop: Header=BB0_2 Depth=1
	v_cvt_f32_u32_e32 v1, s28
	v_cvt_f32_u32_e32 v4, s29
	s_sub_u32 s2, 0, s28
	s_subb_u32 s3, 0, s29
	v_fmac_f32_e32 v1, 0x4f800000, v4
	v_rcp_f32_e32 v1, v1
	s_nop 0
	v_mul_f32_e32 v1, 0x5f7ffffc, v1
	v_mul_f32_e32 v4, 0x2f800000, v1
	v_trunc_f32_e32 v4, v4
	v_fmac_f32_e32 v1, 0xcf800000, v4
	v_cvt_u32_f32_e32 v9, v4
	v_cvt_u32_f32_e32 v1, v1
	v_mul_lo_u32 v4, s2, v9
	v_mul_hi_u32 v12, s2, v1
	v_mul_lo_u32 v5, s3, v1
	v_add_u32_e32 v12, v12, v4
	v_mul_lo_u32 v14, s2, v1
	v_add_u32_e32 v15, v12, v5
	v_mul_hi_u32 v4, v1, v14
	v_mul_hi_u32 v13, v1, v15
	v_mul_lo_u32 v12, v1, v15
	v_mov_b32_e32 v5, v8
	v_lshl_add_u64 v[4:5], v[4:5], 0, v[12:13]
	v_mul_hi_u32 v13, v9, v14
	v_mul_lo_u32 v14, v9, v14
	v_add_co_u32_e32 v4, vcc, v4, v14
	v_mul_hi_u32 v12, v9, v15
	s_nop 0
	v_addc_co_u32_e32 v4, vcc, v5, v13, vcc
	v_mov_b32_e32 v5, v8
	s_nop 0
	v_addc_co_u32_e32 v13, vcc, 0, v12, vcc
	v_mul_lo_u32 v12, v9, v15
	v_lshl_add_u64 v[4:5], v[4:5], 0, v[12:13]
	v_add_co_u32_e32 v1, vcc, v1, v4
	v_mul_lo_u32 v12, s2, v1
	s_nop 0
	v_addc_co_u32_e32 v9, vcc, v9, v5, vcc
	v_mul_lo_u32 v4, s2, v9
	v_mul_hi_u32 v5, s2, v1
	v_add_u32_e32 v4, v5, v4
	v_mul_lo_u32 v5, s3, v1
	v_add_u32_e32 v14, v4, v5
	v_mul_hi_u32 v16, v9, v12
	v_mul_lo_u32 v17, v9, v12
	v_mul_hi_u32 v5, v1, v14
	v_mul_lo_u32 v4, v1, v14
	v_mul_hi_u32 v12, v1, v12
	v_mov_b32_e32 v13, v8
	v_lshl_add_u64 v[4:5], v[12:13], 0, v[4:5]
	v_add_co_u32_e32 v4, vcc, v4, v17
	v_mul_hi_u32 v15, v9, v14
	s_nop 0
	v_addc_co_u32_e32 v4, vcc, v5, v16, vcc
	v_mul_lo_u32 v12, v9, v14
	s_nop 0
	v_addc_co_u32_e32 v13, vcc, 0, v15, vcc
	v_mov_b32_e32 v5, v8
	v_lshl_add_u64 v[4:5], v[4:5], 0, v[12:13]
	v_add_co_u32_e32 v1, vcc, v1, v4
	v_mul_hi_u32 v12, v10, v1
	s_nop 0
	v_addc_co_u32_e32 v9, vcc, v9, v5, vcc
	v_mad_u64_u32 v[4:5], s[2:3], v10, v9, 0
	v_mov_b32_e32 v13, v8
	v_lshl_add_u64 v[4:5], v[12:13], 0, v[4:5]
	v_mad_u64_u32 v[14:15], s[2:3], v11, v1, 0
	v_add_co_u32_e32 v1, vcc, v4, v14
	v_mad_u64_u32 v[12:13], s[2:3], v11, v9, 0
	s_nop 0
	v_addc_co_u32_e32 v4, vcc, v5, v15, vcc
	v_mov_b32_e32 v5, v8
	s_nop 0
	v_addc_co_u32_e32 v13, vcc, 0, v13, vcc
	v_lshl_add_u64 v[4:5], v[4:5], 0, v[12:13]
	v_mul_lo_u32 v1, s29, v4
	v_mul_lo_u32 v9, s28, v5
	v_mad_u64_u32 v[12:13], s[2:3], s28, v4, 0
	v_add3_u32 v1, v13, v9, v1
	v_sub_u32_e32 v9, v11, v1
	v_mov_b32_e32 v13, s29
	v_sub_co_u32_e32 v16, vcc, v10, v12
	v_lshl_add_u64 v[14:15], v[4:5], 0, 1
	s_nop 0
	v_subb_co_u32_e64 v9, s[2:3], v9, v13, vcc
	v_subrev_co_u32_e64 v12, s[2:3], s28, v16
	v_subb_co_u32_e32 v1, vcc, v11, v1, vcc
	s_nop 0
	v_subbrev_co_u32_e64 v9, s[2:3], 0, v9, s[2:3]
	v_cmp_le_u32_e64 s[2:3], s29, v9
	v_cmp_le_u32_e32 vcc, s29, v1
	s_nop 0
	v_cndmask_b32_e64 v13, 0, -1, s[2:3]
	v_cmp_le_u32_e64 s[2:3], s28, v12
	s_nop 1
	v_cndmask_b32_e64 v12, 0, -1, s[2:3]
	v_cmp_eq_u32_e64 s[2:3], s29, v9
	s_nop 1
	v_cndmask_b32_e64 v9, v13, v12, s[2:3]
	v_lshl_add_u64 v[12:13], v[4:5], 0, 2
	v_cmp_ne_u32_e64 s[2:3], 0, v9
	s_nop 1
	v_cndmask_b32_e64 v9, v15, v13, s[2:3]
	v_cndmask_b32_e64 v13, 0, -1, vcc
	v_cmp_le_u32_e32 vcc, s28, v16
	s_nop 1
	v_cndmask_b32_e64 v15, 0, -1, vcc
	v_cmp_eq_u32_e32 vcc, s29, v1
	s_nop 1
	v_cndmask_b32_e32 v1, v13, v15, vcc
	v_cmp_ne_u32_e32 vcc, 0, v1
	v_cndmask_b32_e64 v1, v14, v12, s[2:3]
	s_nop 0
	v_cndmask_b32_e32 v5, v5, v9, vcc
	v_cndmask_b32_e32 v4, v4, v1, vcc
.LBB0_4:                                ;   in Loop: Header=BB0_2 Depth=1
	s_andn2_saveexec_b64 s[2:3], s[30:31]
	s_cbranch_execz .LBB0_6
; %bb.5:                                ;   in Loop: Header=BB0_2 Depth=1
	v_cvt_f32_u32_e32 v1, s28
	s_sub_i32 s30, 0, s28
	v_rcp_iflag_f32_e32 v1, v1
	s_nop 0
	v_mul_f32_e32 v1, 0x4f7ffffe, v1
	v_cvt_u32_f32_e32 v1, v1
	v_mul_lo_u32 v4, s30, v1
	v_mul_hi_u32 v4, v1, v4
	v_add_u32_e32 v1, v1, v4
	v_mul_hi_u32 v1, v10, v1
	v_mul_lo_u32 v4, v1, s28
	v_sub_u32_e32 v4, v10, v4
	v_add_u32_e32 v5, 1, v1
	v_subrev_u32_e32 v9, s28, v4
	v_cmp_le_u32_e32 vcc, s28, v4
	s_nop 1
	v_cndmask_b32_e32 v4, v4, v9, vcc
	v_cndmask_b32_e32 v1, v1, v5, vcc
	v_add_u32_e32 v5, 1, v1
	v_cmp_le_u32_e32 vcc, s28, v4
	s_nop 1
	v_cndmask_b32_e32 v4, v1, v5, vcc
	v_mov_b32_e32 v5, v8
.LBB0_6:                                ;   in Loop: Header=BB0_2 Depth=1
	s_or_b64 exec, exec, s[2:3]
	v_mad_u64_u32 v[12:13], s[2:3], v4, s28, 0
	s_load_dwordx2 s[2:3], s[22:23], 0x0
	v_mul_lo_u32 v1, v5, s28
	v_mul_lo_u32 v9, v4, s29
	s_load_dwordx2 s[28:29], s[20:21], 0x0
	s_add_u32 s26, s26, 1
	v_add3_u32 v1, v13, v9, v1
	v_sub_co_u32_e32 v9, vcc, v10, v12
	s_addc_u32 s27, s27, 0
	s_nop 0
	v_subb_co_u32_e32 v1, vcc, v11, v1, vcc
	s_add_u32 s20, s20, 8
	s_waitcnt lgkmcnt(0)
	v_mul_lo_u32 v10, s2, v1
	v_mul_lo_u32 v11, s3, v9
	v_mad_u64_u32 v[6:7], s[2:3], s2, v9, v[6:7]
	s_addc_u32 s21, s21, 0
	v_add3_u32 v7, v11, v7, v10
	v_mul_lo_u32 v1, s28, v1
	v_mul_lo_u32 v10, s29, v9
	v_mad_u64_u32 v[2:3], s[2:3], s28, v9, v[2:3]
	s_add_u32 s22, s22, 8
	v_add3_u32 v3, v10, v3, v1
	s_addc_u32 s23, s23, 0
	v_mov_b64_e32 v[10:11], s[6:7]
	s_add_u32 s24, s24, 8
	v_cmp_ge_u64_e32 vcc, s[26:27], v[10:11]
	s_addc_u32 s25, s25, 0
	s_cbranch_vccnz .LBB0_9
; %bb.7:                                ;   in Loop: Header=BB0_2 Depth=1
	v_mov_b64_e32 v[10:11], v[4:5]
	s_branch .LBB0_2
.LBB0_8:
	v_mov_b64_e32 v[2:3], v[6:7]
	v_mov_b64_e32 v[4:5], v[10:11]
.LBB0_9:
	s_load_dwordx2 s[0:1], s[0:1], 0x28
	s_lshl_b64 s[20:21], s[6:7], 3
	s_mov_b32 s6, 0x226b903
	v_mul_hi_u32 v1, v0, s6
	v_mul_u32_u24_e32 v1, 0x77, v1
	s_waitcnt lgkmcnt(0)
	v_cmp_gt_u64_e32 vcc, s[0:1], v[4:5]
	v_sub_u32_e32 v8, v0, v1
	s_movk_i32 s0, 0x69
	s_add_u32 s2, s14, s20
	v_cmp_gt_u32_e64 s[0:1], s0, v8
	s_addc_u32 s3, s15, s21
	s_and_b64 s[14:15], vcc, s[0:1]
	v_mov_b32_e32 v10, 0
	v_mov_b32_e32 v38, 0
                                        ; implicit-def: $vgpr15
                                        ; implicit-def: $vgpr0
                                        ; implicit-def: $vgpr16
                                        ; implicit-def: $vgpr1
                                        ; implicit-def: $vgpr17
                                        ; implicit-def: $vgpr9
                                        ; implicit-def: $vgpr18
                                        ; implicit-def: $vgpr11
                                        ; implicit-def: $vgpr19
                                        ; implicit-def: $vgpr12
                                        ; implicit-def: $vgpr20
                                        ; implicit-def: $vgpr13
                                        ; implicit-def: $vgpr21
                                        ; implicit-def: $vgpr14
                                        ; implicit-def: $vgpr22
                                        ; implicit-def: $vgpr31
                                        ; implicit-def: $vgpr23
                                        ; implicit-def: $vgpr24
                                        ; implicit-def: $vgpr32
                                        ; implicit-def: $vgpr25
                                        ; implicit-def: $vgpr34
                                        ; implicit-def: $vgpr26
                                        ; implicit-def: $vgpr37
                                        ; implicit-def: $vgpr27
                                        ; implicit-def: $vgpr39
                                        ; implicit-def: $vgpr28
                                        ; implicit-def: $vgpr36
                                        ; implicit-def: $vgpr29
                                        ; implicit-def: $vgpr35
                                        ; implicit-def: $vgpr30
                                        ; implicit-def: $vgpr33
	s_and_saveexec_b64 s[6:7], s[14:15]
	s_cbranch_execz .LBB0_11
; %bb.10:
	s_add_u32 s12, s12, s20
	s_addc_u32 s13, s13, s21
	s_load_dwordx2 s[12:13], s[12:13], 0x0
	v_add_u32_e32 v15, 0x348, v8
	s_waitcnt lgkmcnt(0)
	v_mul_lo_u32 v9, s13, v4
	v_mul_lo_u32 v10, s12, v5
	v_mad_u64_u32 v[0:1], s[12:13], s12, v4, 0
	v_add3_u32 v1, v1, v10, v9
	v_mad_u64_u32 v[10:11], s[12:13], s18, v8, 0
	v_mov_b32_e32 v12, v11
	v_mad_u64_u32 v[12:13], s[12:13], s19, v8, v[12:13]
	v_lshl_add_u64 v[0:1], v[0:1], 2, s[8:9]
	v_add_u32_e32 v9, 0x69, v8
	v_mov_b32_e32 v11, v12
	v_lshl_add_u64 v[6:7], v[6:7], 2, v[0:1]
	v_mad_u64_u32 v[0:1], s[8:9], s18, v9, 0
	v_lshl_add_u64 v[16:17], v[10:11], 2, v[6:7]
	v_mov_b32_e32 v10, v1
	v_mad_u64_u32 v[10:11], s[8:9], s19, v9, v[10:11]
	v_mov_b32_e32 v1, v10
	v_add_u32_e32 v9, 0xd2, v8
	v_lshl_add_u64 v[18:19], v[0:1], 2, v[6:7]
	v_mad_u64_u32 v[0:1], s[8:9], s18, v9, 0
	v_mov_b32_e32 v10, v1
	v_mad_u64_u32 v[10:11], s[8:9], s19, v9, v[10:11]
	v_mov_b32_e32 v1, v10
	v_add_u32_e32 v9, 0x13b, v8
	v_lshl_add_u64 v[20:21], v[0:1], 2, v[6:7]
	v_mad_u64_u32 v[0:1], s[8:9], s18, v9, 0
	;; [unrolled: 6-line block ×6, first 2 shown]
	v_mov_b32_e32 v10, v1
	v_mad_u64_u32 v[10:11], s[8:9], s19, v9, v[10:11]
	v_mov_b32_e32 v1, v10
	v_lshl_add_u64 v[30:31], v[0:1], 2, v[6:7]
	global_load_dword v40, v[16:17], off
	global_load_dword v0, v[18:19], off
	;; [unrolled: 1-line block ×8, first 2 shown]
	v_mad_u64_u32 v[16:17], s[8:9], s18, v15, 0
	v_mov_b32_e32 v10, v17
	s_waitcnt vmcnt(3)
	v_mad_u64_u32 v[18:19], s[8:9], s19, v15, v[10:11]
	v_add_u32_e32 v15, 0x3b1, v8
	v_mov_b32_e32 v17, v18
	v_mad_u64_u32 v[18:19], s[8:9], s18, v15, 0
	v_mov_b32_e32 v10, v19
	v_mad_u64_u32 v[20:21], s[8:9], s19, v15, v[10:11]
	v_add_u32_e32 v15, 0x41a, v8
	v_mov_b32_e32 v19, v20
	v_mad_u64_u32 v[20:21], s[8:9], s18, v15, 0
	v_mov_b32_e32 v10, v21
	v_mad_u64_u32 v[22:23], s[8:9], s19, v15, v[10:11]
	v_add_u32_e32 v15, 0x483, v8
	v_mov_b32_e32 v21, v22
	v_mad_u64_u32 v[22:23], s[8:9], s18, v15, 0
	v_mov_b32_e32 v10, v23
	v_mad_u64_u32 v[24:25], s[8:9], s19, v15, v[10:11]
	v_add_u32_e32 v15, 0x4ec, v8
	v_mov_b32_e32 v23, v24
	v_mad_u64_u32 v[24:25], s[8:9], s18, v15, 0
	v_mov_b32_e32 v10, v25
	v_mad_u64_u32 v[26:27], s[8:9], s19, v15, v[10:11]
	v_add_u32_e32 v15, 0x555, v8
	v_mov_b32_e32 v25, v26
	v_mad_u64_u32 v[26:27], s[8:9], s18, v15, 0
	v_mov_b32_e32 v10, v27
	v_mad_u64_u32 v[28:29], s[8:9], s19, v15, v[10:11]
	v_add_u32_e32 v15, 0x5be, v8
	v_mov_b32_e32 v27, v28
	v_mad_u64_u32 v[28:29], s[8:9], s18, v15, 0
	v_mov_b32_e32 v10, v29
	v_mad_u64_u32 v[30:31], s[8:9], s19, v15, v[10:11]
	v_add_u32_e32 v15, 0x627, v8
	v_mov_b32_e32 v29, v30
	v_mad_u64_u32 v[30:31], s[8:9], s18, v15, 0
	v_mov_b32_e32 v10, v31
	v_mad_u64_u32 v[32:33], s[8:9], s19, v15, v[10:11]
	v_lshl_add_u64 v[16:17], v[16:17], 2, v[6:7]
	v_mov_b32_e32 v31, v32
	v_add_u32_e32 v15, 0x690, v8
	v_lshl_add_u64 v[18:19], v[18:19], 2, v[6:7]
	v_lshl_add_u64 v[20:21], v[20:21], 2, v[6:7]
	;; [unrolled: 1-line block ×7, first 2 shown]
	global_load_dword v31, v[16:17], off
	global_load_dword v41, v[18:19], off
	;; [unrolled: 1-line block ×8, first 2 shown]
	v_mad_u64_u32 v[16:17], s[8:9], s18, v15, 0
	v_mov_b32_e32 v10, v17
	v_mad_u64_u32 v[18:19], s[8:9], s19, v15, v[10:11]
	v_mov_b32_e32 v17, v18
	v_lshl_add_u64 v[6:7], v[16:17], 2, v[6:7]
	global_load_dword v39, v[6:7], off
	s_mov_b32 s8, 0x5040100
	v_lshrrev_b32_e32 v10, 16, v40
	v_lshrrev_b32_e32 v15, 16, v0
	;; [unrolled: 1-line block ×5, first 2 shown]
	s_waitcnt vmcnt(11)
	v_lshrrev_b32_e32 v19, 16, v12
	s_waitcnt vmcnt(10)
	v_lshrrev_b32_e32 v20, 16, v13
	;; [unrolled: 2-line block ×11, first 2 shown]
	v_perm_b32 v38, v40, v41, s8
	s_waitcnt vmcnt(0)
	v_lshrrev_b32_e32 v27, 16, v39
.LBB0_11:
	s_or_b64 exec, exec, s[6:7]
	v_sub_f16_e32 v7, v15, v27
	s_mov_b32 s20, 0xb5c8b964
	v_add_f16_e32 v53, v0, v39
	v_sub_f16_e32 v40, v16, v26
	s_mov_b32 s8, 0x3b7639e9
	v_pk_mul_f16 v55, v7, s20 op_sel_hi:[0,1]
	s_mov_b32 s21, 0xb964bbf7
	v_add_f16_e32 v54, v1, v37
	v_pk_fma_f16 v6, v53, s8, v55 op_sel_hi:[0,1,1] neg_lo:[0,0,1] neg_hi:[0,0,1]
	s_mov_b32 s9, 0x39e92de8
	v_pk_mul_f16 v56, v40, s21 op_sel_hi:[0,1]
	v_sub_f16_e32 v41, v17, v25
	v_pk_add_f16 v6, v38, v6 op_sel:[1,0]
	v_pk_fma_f16 v57, v54, s9, v56 op_sel_hi:[0,1,1] neg_lo:[0,0,1] neg_hi:[0,0,1]
	s_mov_b32 s22, 0xbb29ba62
	v_add_f16_e32 v52, v9, v34
	v_pk_add_f16 v6, v57, v6
	s_mov_b32 s12, 0x3722b8d2
	v_pk_mul_f16 v57, v41, s22 op_sel_hi:[0,1]
	v_sub_f16_e32 v42, v18, v28
	v_pk_fma_f16 v58, v52, s12, v57 op_sel_hi:[0,1,1] neg_lo:[0,0,1] neg_hi:[0,0,1]
	s_mov_b32 s23, 0xbbf7b1e1
	v_add_f16_e32 v51, v11, v36
	v_pk_add_f16 v6, v58, v6
	s_mov_b32 s13, 0x2de8bbdd
	v_pk_mul_f16 v58, v42, s23 op_sel_hi:[0,1]
	v_sub_f16_e32 v43, v19, v29
	;; [unrolled: 7-line block ×5, first 2 shown]
	v_pk_fma_f16 v62, v48, s18, v61 op_sel_hi:[0,1,1] neg_lo:[0,0,1] neg_hi:[0,0,1]
	s_mov_b32 s27, 0xb1e135c8
	v_add_f16_e32 v47, v31, v38
	v_pk_add_f16 v6, v6, v62
	s_mov_b32 s19, 0xbbdd3b76
	v_pk_mul_f16 v62, v46, s27 op_sel_hi:[0,1]
	v_pk_fma_f16 v63, v47, s19, v62 op_sel_hi:[0,1,1] neg_lo:[0,0,1] neg_hi:[0,0,1]
	v_pk_add_f16 v6, v63, v6
	s_and_saveexec_b64 s[6:7], s[0:1]
	s_cbranch_execz .LBB0_13
; %bb.12:
	v_pk_mul_f16 v68, v54, s9 op_sel_hi:[0,1]
	v_pk_add_f16 v68, v56, v68
	v_add_f16_sdwa v56, v38, v0 dst_sel:DWORD dst_unused:UNUSED_PAD src0_sel:WORD_1 src1_sel:DWORD
	v_add_f16_e32 v56, v56, v1
	v_pack_b32_f16 v73, v51, v51
	s_mov_b32 s31, 0xb8d2bacd
	v_add_f16_e32 v56, v56, v9
	v_pk_mul_f16 v71, v52, s12 op_sel_hi:[0,1]
	v_pack_b32_f16 v76, v50, v50
	v_pk_mul_f16 v89, v73, s31
	s_mov_b32 s31, 0x3b762de8
	v_add_f16_e32 v56, v56, v11
	v_pk_mul_f16 v74, v51, s13 op_sel_hi:[0,1]
	v_pack_b32_f16 v79, v49, v49
	v_pk_add_f16 v57, v57, v71
	v_pk_mul_f16 v71, v76, s31
	s_mov_b32 s31, 0xbbdd39e9
	v_add_f16_e32 v56, v56, v12
	v_pack_b32_f16 v82, v48, v48
	v_pk_add_f16 v58, v58, v74
	v_pk_mul_f16 v74, v79, s31
	s_mov_b32 s31, 0x39e9bbdd
	v_add_f16_e32 v56, v56, v13
	v_pk_mul_f16 v64, v53, s8 op_sel_hi:[0,1]
	v_pk_mul_f16 v77, v50, s14 op_sel_hi:[0,1]
	v_pk_mul_f16 v90, v82, s31
	v_add_f16_e32 v56, v56, v14
	s_mov_b32 s31, 0xffff
	v_pk_add_f16 v77, v59, v77
	v_bfi_b32 v56, s31, v56, v55
	v_bfi_b32 v59, s31, v31, v64
	v_pk_add_f16 v56, v56, v59
	v_bfi_b32 v59, s31, v33, v68
	v_pk_add_f16 v56, v56, v38
	v_pk_mul_f16 v80, v49, s15 op_sel_hi:[0,1]
	v_pk_add_f16 v56, v56, v59
	v_bfi_b32 v59, s31, v32, v57
	v_pk_add_f16 v56, v59, v56
	v_bfi_b32 v59, s31, v35, v58
	s_mov_b32 s28, 0x7060302
	v_pk_mul_f16 v83, v48, s18 op_sel_hi:[0,1]
	v_pk_add_f16 v60, v60, v80
	v_pk_add_f16 v56, v59, v56
	v_bfi_b32 v59, s31, v36, v77
	v_pack_b32_f16 v63, v53, v53
	v_perm_b32 v66, v38, v38, s28
	s_mov_b32 s28, 0xbacdb8d2
	v_pk_add_f16 v61, v61, v83
	v_pk_add_f16 v56, v59, v56
	v_bfi_b32 v59, s31, v34, v60
	v_pack_b32_f16 v65, v7, v7
	v_pack_b32_f16 v67, v54, v54
	v_pk_mul_f16 v86, v63, s28
	s_mov_b32 s28, 0xb836ba62
	s_mov_b32 s29, 0x3722b461
	v_pk_add_f16 v56, v59, v56
	v_bfi_b32 v59, s31, v37, v61
	v_pack_b32_f16 v69, v40, v40
	v_pack_b32_f16 v70, v52, v52
	v_pk_mul_f16 v87, v67, s29
	s_mov_b32 s29, 0x3b293bb2
	s_mov_b32 s30, 0x2de83b76
	v_pk_add_f16 v56, v59, v56
	v_pk_fma_f16 v59, v65, s28, v86
	v_pack_b32_f16 v72, v41, v41
	v_pk_mul_f16 v88, v70, s30
	s_mov_b32 s30, 0xbbf7b5c8
	v_pk_add_f16 v59, v66, v59
	v_pk_fma_f16 v80, v69, s29, v87
	v_pack_b32_f16 v75, v42, v42
	s_mov_b32 s33, 0x3a62b836
	v_pk_add_f16 v59, v80, v59
	v_pk_fma_f16 v80, v72, s30, v88
	v_pack_b32_f16 v78, v43, v43
	;; [unrolled: 4-line block ×4, first 2 shown]
	s_mov_b32 s36, 0x3964b1e1
	v_pk_add_f16 v59, v59, v80
	v_pk_fma_f16 v80, v81, s35, v74
	v_pk_mul_f16 v85, v47, s19 op_sel_hi:[0,1]
	v_pk_add_f16 v59, v80, v59
	v_pk_fma_f16 v80, v84, s36, v90
	v_pk_add_f16 v62, v62, v85
	v_pk_add_f16 v59, v59, v80
	v_pack_b32_f16 v80, v47, v47
	s_mov_b32 s37, 0xb4613722
	s_mov_b32 s38, 0xbbb23b29
	v_pack_b32_f16 v83, v46, v46
	v_pk_mul_f16 v85, v80, s37
	v_bfi_b32 v91, s31, v39, v62
	v_pk_fma_f16 v92, v83, s38, v85
	v_pk_add_f16 v56, v91, v56
	s_mov_b32 s37, 0xbbb2
	v_mul_f16_e32 v91, 0xb461, v53
	v_add_f16_e32 v55, v55, v64
	v_pk_add_f16 v59, v92, v59
	s_movk_i32 s39, 0x3836
	v_fma_f16 v92, v7, s37, v91
	v_mul_f16_e32 v93, 0xbacd, v54
	v_add_f16_sdwa v55, v38, v55 dst_sel:DWORD dst_unused:UNUSED_PAD src0_sel:WORD_1 src1_sel:DWORD
	v_add_f16_sdwa v92, v38, v92 dst_sel:DWORD dst_unused:UNUSED_PAD src0_sel:WORD_1 src1_sel:DWORD
	v_fma_f16 v94, v40, s39, v93
	v_add_f16_e32 v55, v68, v55
	v_add_f16_e32 v92, v94, v92
	s_movk_i32 s39, 0x3964
	v_mul_f16_e32 v94, 0x39e9, v52
	v_add_f16_e32 v55, v57, v55
	v_fma_f16 v95, v41, s39, v94
	v_add_f16_e32 v55, v58, v55
	v_add_f16_e32 v92, v95, v92
	s_mov_b32 s40, 0xbb29
	v_mul_f16_e32 v95, 0x3722, v51
	v_add_f16_e32 v55, v55, v77
	s_mov_b32 s43, 0x2de83722
	v_fma_f16 v96, v42, s40, v95
	v_add_f16_e32 v55, v60, v55
	v_pk_mul_f16 v60, v63, s43
	s_mov_b32 s43, 0xbbf7bb29
	s_mov_b32 s44, 0xbbddb8d2
	v_add_f16_e32 v92, v96, v92
	s_mov_b32 s40, 0xb1e1
	v_mul_f16_e32 v96, 0xbbdd, v50
	v_add_f16_e32 v55, v55, v61
	v_pk_mul_f16 v61, v67, s44
	s_mov_b32 s44, 0xb1e1ba62
	v_pk_fma_f16 v57, v65, s43, v60
	s_mov_b32 s45, 0xb461bbdd
	v_fma_f16 v97, v43, s40, v96
	v_add_f16_e32 v55, v62, v55
	v_pk_add_f16 v57, v66, v57
	v_pk_fma_f16 v58, v69, s44, v61
	v_pk_mul_f16 v62, v70, s45
	s_mov_b32 s45, 0x3bb231e1
	s_mov_b32 s46, 0x3b76b461
	v_add_f16_e32 v92, v92, v97
	s_movk_i32 s41, 0x3bf7
	v_mul_f16_e32 v97, 0x2de8, v49
	v_pk_add_f16 v57, v58, v57
	v_pk_fma_f16 v58, v72, s45, v62
	v_pk_mul_f16 v63, v73, s46
	s_mov_b32 s46, 0x35c83bb2
	s_mov_b32 s47, 0x372239e9
	v_fma_f16 v98, v44, s41, v97
	v_pk_add_f16 v57, v58, v57
	v_pk_fma_f16 v58, v75, s46, v63
	v_pk_mul_f16 v64, v76, s47
	s_mov_b32 s47, 0xbb293964
	s_mov_b32 s48, 0xbacd3b76
	v_add_f16_e32 v92, v98, v92
	s_mov_b32 s42, 0xb5c8
	v_mul_f16_e32 v98, 0x3b76, v48
	v_pk_add_f16 v57, v58, v57
	v_pk_fma_f16 v58, v78, s47, v64
	v_pk_mul_f16 v67, v79, s48
	s_mov_b32 s48, 0xb836b5c8
	s_mov_b32 s49, 0xb8d22de8
	v_fma_f16 v99, v45, s42, v98
	v_pk_add_f16 v57, v57, v58
	v_pk_fma_f16 v58, v81, s48, v67
	v_pk_mul_f16 v68, v82, s49
	s_mov_b32 s49, 0x3a62bbf7
	s_mov_b32 s50, 0x39e9bacd
	v_add_f16_e32 v92, v92, v99
	s_mov_b32 s42, 0xba62
	v_mul_f16_e32 v99, 0xb8d2, v47
	v_pk_add_f16 v57, v58, v57
	v_pk_fma_f16 v58, v84, s49, v68
	v_pk_mul_f16 v70, v80, s50
	s_mov_b32 s50, 0x3964b836
	v_fma_f16 v100, v46, s42, v99
	v_pk_add_f16 v57, v57, v58
	v_pk_fma_f16 v58, v83, s50, v70
	v_add_f16_e32 v92, v100, v92
	v_pk_add_f16 v57, v58, v57
	v_mul_f16_e32 v53, 0xbbdd, v53
	v_alignbit_b32 v58, v92, v57, 16
	v_pack_b32_f16 v57, v55, v57
	v_mad_u32_u24 v55, v8, 34, 0
	ds_write_b128 v55, v[56:59]
	v_mul_f16_e32 v54, 0x3b76, v54
	s_movk_i32 s51, 0x35c8
	v_fma_f16 v56, v7, s40, v53
	v_add_f16_sdwa v56, v38, v56 dst_sel:DWORD dst_unused:UNUSED_PAD src0_sel:WORD_1 src1_sel:DWORD
	v_fma_f16 v57, v40, s51, v54
	v_mul_f16_e32 v52, 0xbacd, v52
	s_mov_b32 s40, 0xb836
	v_add_f16_e32 v56, v57, v56
	v_fma_f16 v57, v41, s40, v52
	v_mul_f16_e32 v51, 0x39e9, v51
	v_add_f16_e32 v56, v57, v56
	v_fma_f16 v57, v42, s39, v51
	v_mul_f16_e32 v50, 0xb8d2, v50
	v_add_f16_e32 v56, v57, v56
	v_fma_f16 v57, v43, s42, v50
	v_mul_f16_e32 v49, 0x3722, v49
	s_movk_i32 s39, 0x3b29
	v_add_f16_e32 v56, v56, v57
	v_fma_f16 v57, v44, s39, v49
	v_mul_f16_e32 v48, 0xb461, v48
	v_add_f16_e32 v56, v57, v56
	v_fma_f16 v57, v45, s37, v48
	v_mul_f16_e32 v47, 0x2de8, v47
	v_add_f16_e32 v56, v56, v57
	v_fma_f16 v57, v46, s41, v47
	v_add_f16_e32 v56, v57, v56
	v_pk_mul_f16 v57, v65, s28
	v_bfi_b32 v53, s31, v53, v86
	v_sub_f16_e32 v58, v86, v57
	v_mul_f16_e32 v86, 0xb1e1, v7
	v_bfi_b32 v57, s31, v86, v57
	v_pk_mul_f16 v59, v69, s29
	v_pk_add_f16 v53, v53, v57 neg_lo:[0,1] neg_hi:[0,1]
	v_mul_f16_e32 v57, 0x35c8, v40
	v_bfi_b32 v54, s31, v54, v87
	v_bfi_b32 v57, s31, v57, v59
	v_add_f16_sdwa v58, v38, v58 dst_sel:DWORD dst_unused:UNUSED_PAD src0_sel:WORD_1 src1_sel:DWORD
	v_sub_f16_e32 v73, v87, v59
	v_pk_add_f16 v54, v54, v57 neg_lo:[0,1] neg_hi:[0,1]
	v_pk_add_f16 v53, v66, v53
	v_add_f16_e32 v58, v73, v58
	v_pk_mul_f16 v73, v72, s30
	v_pk_add_f16 v53, v54, v53
	v_mul_f16_e32 v54, 0xb836, v41
	v_bfi_b32 v52, s31, v52, v88
	v_bfi_b32 v54, s31, v54, v73
	v_sub_f16_e32 v76, v88, v73
	v_pk_add_f16 v52, v52, v54 neg_lo:[0,1] neg_hi:[0,1]
	v_add_f16_e32 v58, v76, v58
	v_pk_mul_f16 v76, v75, s33
	v_pk_add_f16 v52, v52, v53
	v_mul_f16_e32 v53, 0x3964, v42
	v_sub_f16_e32 v77, v89, v76
	v_bfi_b32 v51, s31, v51, v89
	v_bfi_b32 v53, s31, v53, v76
	v_add_f16_e32 v58, v77, v58
	v_pk_mul_f16 v77, v78, s34
	v_pk_add_f16 v51, v51, v53 neg_lo:[0,1] neg_hi:[0,1]
	v_sub_f16_e32 v79, v71, v77
	v_pk_add_f16 v51, v51, v52
	v_mul_f16_e32 v52, 0xba62, v43
	v_add_f16_e32 v58, v58, v79
	v_pk_mul_f16 v79, v81, s35
	v_bfi_b32 v50, s31, v50, v71
	v_bfi_b32 v52, s31, v52, v77
	v_mul_f16_e32 v53, 0x3b29, v44
	v_sub_f16_e32 v80, v74, v79
	v_pk_add_f16 v50, v50, v52 neg_lo:[0,1] neg_hi:[0,1]
	v_bfi_b32 v49, s31, v49, v74
	v_bfi_b32 v53, s31, v53, v79
	v_add_f16_e32 v58, v80, v58
	v_pk_mul_f16 v80, v84, s36
	v_mul_f16_e32 v52, 0xbbb2, v45
	v_pk_add_f16 v50, v51, v50
	v_pk_add_f16 v49, v49, v53 neg_lo:[0,1] neg_hi:[0,1]
	v_sub_f16_e32 v82, v90, v80
	v_pk_add_f16 v49, v49, v50
	v_bfi_b32 v48, s31, v48, v90
	v_bfi_b32 v50, s31, v52, v80
	v_add_f16_e32 v58, v58, v82
	v_pk_mul_f16 v82, v83, s38
	v_mul_f16_e32 v51, 0x3bf7, v46
	v_pk_add_f16 v48, v48, v50 neg_lo:[0,1] neg_hi:[0,1]
	v_bfi_b32 v47, s31, v47, v85
	v_pk_add_f16 v48, v49, v48
	v_bfi_b32 v49, s31, v51, v82
	v_pk_mul_f16 v65, v65, s43
	v_mul_f16_e32 v7, 0xbbb2, v7
	v_pk_add_f16 v47, v47, v49 neg_lo:[0,1] neg_hi:[0,1]
	v_pk_mul_f16 v69, v69, s44
	v_mul_f16_e32 v40, 0x3836, v40
	v_pk_add_f16 v47, v47, v48
	v_bfi_b32 v48, s31, v91, v60
	v_bfi_b32 v7, s31, v7, v65
	v_pk_add_f16 v7, v48, v7 neg_lo:[0,1] neg_hi:[0,1]
	v_bfi_b32 v48, s31, v93, v61
	v_bfi_b32 v40, s31, v40, v69
	v_pk_mul_f16 v72, v72, s45
	v_mul_f16_e32 v41, 0x3964, v41
	v_pk_add_f16 v7, v66, v7
	v_pk_add_f16 v40, v48, v40 neg_lo:[0,1] neg_hi:[0,1]
	v_bfi_b32 v41, s31, v41, v72
	v_pk_add_f16 v7, v40, v7
	v_bfi_b32 v40, s31, v94, v62
	v_pk_mul_f16 v75, v75, s46
	v_mul_f16_e32 v42, 0xbb29, v42
	v_pk_add_f16 v40, v40, v41 neg_lo:[0,1] neg_hi:[0,1]
	v_bfi_b32 v41, s31, v42, v75
	v_pk_add_f16 v7, v40, v7
	v_bfi_b32 v40, s31, v95, v63
	v_pk_mul_f16 v78, v78, s47
	v_mul_f16_e32 v43, 0xb1e1, v43
	v_pk_add_f16 v40, v40, v41 neg_lo:[0,1] neg_hi:[0,1]
	v_sub_f16_e32 v92, v85, v82
	v_pk_add_f16 v7, v40, v7
	v_bfi_b32 v40, s31, v96, v64
	v_bfi_b32 v41, s31, v43, v78
	v_add_f16_e32 v58, v92, v58
	v_sub_f16_e32 v92, v60, v65
	v_pk_mul_f16 v81, v81, s48
	v_mul_f16_e32 v44, 0x3bf7, v44
	v_pk_add_f16 v40, v40, v41 neg_lo:[0,1] neg_hi:[0,1]
	v_add_f16_sdwa v92, v38, v92 dst_sel:DWORD dst_unused:UNUSED_PAD src0_sel:WORD_1 src1_sel:DWORD
	v_sub_f16_e32 v100, v61, v69
	v_pk_add_f16 v7, v7, v40
	v_bfi_b32 v40, s31, v97, v67
	v_bfi_b32 v41, s31, v44, v81
	v_add_f16_e32 v92, v100, v92
	v_sub_f16_e32 v100, v62, v72
	v_pk_mul_f16 v84, v84, s49
	v_mul_f16_e32 v45, 0xb5c8, v45
	v_pk_add_f16 v40, v40, v41 neg_lo:[0,1] neg_hi:[0,1]
	v_add_f16_e32 v92, v100, v92
	v_sub_f16_e32 v100, v63, v75
	v_pk_add_f16 v7, v40, v7
	v_bfi_b32 v40, s31, v98, v68
	v_bfi_b32 v41, s31, v45, v84
	v_add_f16_e32 v92, v100, v92
	v_sub_f16_e32 v100, v64, v78
	v_pk_mul_f16 v83, v83, s50
	v_mul_f16_e32 v46, 0xba62, v46
	v_pk_add_f16 v40, v40, v41 neg_lo:[0,1] neg_hi:[0,1]
	v_add_f16_e32 v92, v92, v100
	v_sub_f16_e32 v100, v67, v81
	v_pk_add_f16 v7, v7, v40
	v_bfi_b32 v40, s31, v99, v70
	v_bfi_b32 v41, s31, v46, v83
	v_add_f16_e32 v92, v100, v92
	v_sub_f16_e32 v100, v68, v84
	v_pk_add_f16 v40, v40, v41 neg_lo:[0,1] neg_hi:[0,1]
	v_add_f16_e32 v92, v92, v100
	v_sub_f16_e32 v100, v70, v83
	v_pk_add_f16 v42, v40, v7
	v_alignbit_b32 v41, v58, v47, 16
	v_pack_b32_f16 v40, v56, v47
	v_add_f16_e32 v92, v100, v92
	ds_write_b96 v55, v[40:42] offset:16
	ds_write_b16 v55, v92 offset:28
	ds_write_b32 v55, v6 offset:30
.LBB0_13:
	s_or_b64 exec, exec, s[6:7]
	v_sub_f16_e32 v67, v0, v39
	v_add_f16_e32 v66, v15, v27
	v_sub_f16_e32 v65, v1, v37
	v_pk_mul_f16 v48, v67, s20 op_sel_hi:[0,1]
	v_add_f16_e32 v64, v16, v26
	v_sub_f16_e32 v63, v9, v34
	v_pk_fma_f16 v0, v66, s8, v48 op_sel_hi:[0,1,1]
	v_pk_mul_f16 v49, v65, s21 op_sel_hi:[0,1]
	v_add_f16_e32 v62, v17, v25
	v_sub_f16_e32 v61, v11, v36
	v_pk_add_f16 v0, v10, v0 op_sel_hi:[0,1]
	v_pk_fma_f16 v1, v64, s9, v49 op_sel_hi:[0,1,1]
	v_pk_mul_f16 v50, v63, s22 op_sel_hi:[0,1]
	v_add_f16_e32 v60, v18, v28
	v_sub_f16_e32 v59, v12, v35
	v_pk_add_f16 v0, v1, v0
	v_pk_fma_f16 v1, v62, s12, v50 op_sel_hi:[0,1,1]
	v_pk_mul_f16 v52, v61, s23 op_sel_hi:[0,1]
	v_add_f16_e32 v58, v19, v29
	v_sub_f16_e32 v54, v13, v32
	v_pk_add_f16 v0, v1, v0
	;; [unrolled: 5-line block ×3, first 2 shown]
	v_pk_fma_f16 v1, v58, s14, v53 op_sel_hi:[0,1,1]
	v_pk_mul_f16 v55, v54, s25 op_sel_hi:[0,1]
	v_add_f16_e32 v46, v21, v30
	v_pk_add_f16 v0, v0, v1
	v_pk_fma_f16 v1, v51, s15, v55 op_sel_hi:[0,1,1]
	v_pk_mul_f16 v56, v47, s26 op_sel_hi:[0,1]
	v_pk_add_f16 v0, v1, v0
	v_pk_fma_f16 v1, v46, s18, v56 op_sel_hi:[0,1,1]
	v_add_u32_e32 v43, 0x165, v8
	v_pk_add_f16 v7, v0, v1
	v_lshl_add_u32 v0, v8, 1, 0
	v_add_u32_e32 v9, 0xee, v8
	v_lshl_add_u32 v11, v43, 1, 0
	v_sub_f16_e32 v45, v31, v38
	s_waitcnt lgkmcnt(0)
	s_barrier
	ds_read_u16 v32, v0
	ds_read_u16 v14, v0 offset:238
	v_lshl_add_u32 v1, v9, 1, 0
	ds_read_u16 v13, v11
	ds_read_u16 v39, v0 offset:2380
	ds_read_u16 v37, v0 offset:2618
	ds_read_u16 v36, v0 offset:2856
	ds_read_u16 v33, v0 offset:3094
	ds_read_u16 v41, v0 offset:1428
	ds_read_u16 v40, v0 offset:1666
	ds_read_u16 v38, v0 offset:1904
	ds_read_u16 v34, v0 offset:2142
	ds_read_u16 v42, v0 offset:1190
	ds_read_u16 v12, v0 offset:952
	ds_read_u16 v31, v1
	ds_read_u16 v35, v0 offset:3332
	v_add_f16_e32 v44, v22, v23
	v_pk_mul_f16 v57, v45, s27 op_sel_hi:[0,1]
	v_pk_fma_f16 v68, v44, s19, v57 op_sel_hi:[0,1,1]
	s_mov_b32 s20, 0x5040100
	v_pk_add_f16 v7, v68, v7
	s_waitcnt lgkmcnt(0)
	s_barrier
	s_and_saveexec_b64 s[6:7], s[0:1]
	s_cbranch_execz .LBB0_15
; %bb.14:
	v_add_f16_e32 v15, v10, v15
	v_add_f16_e32 v15, v15, v16
	;; [unrolled: 1-line block ×14, first 2 shown]
	s_mov_b32 s0, 0xb461
	v_mul_f16_e32 v17, 0xbbb2, v67
	v_pk_mul_f16 v69, v66, s8 op_sel_hi:[0,1]
	v_add_f16_e32 v15, v26, v15
	v_fma_f16 v18, v66, s0, -v17
	s_mov_b32 s1, 0xbbdd
	v_mul_f16_e32 v22, 0xb1e1, v67
	s_mov_b32 s8, 0xbacd
	v_mul_f16_e32 v23, 0x3836, v65
	v_pk_mul_f16 v73, v64, s9 op_sel_hi:[0,1]
	v_pk_mul_f16 v76, v62, s12 op_sel_hi:[0,1]
	v_add_f16_e32 v15, v27, v15
	v_add_f16_e32 v18, v10, v18
	v_fma_f16 v19, v66, s1, -v22
	v_fma_f16 v24, v64, s8, -v23
	s_movk_i32 s9, 0x3b76
	v_mul_f16_e32 v25, 0x35c8, v65
	s_movk_i32 s12, 0x39e9
	v_mul_f16_e32 v27, 0x3964, v63
	v_add_f16_e32 v19, v10, v19
	v_add_f16_e32 v18, v24, v18
	v_fma_f16 v26, v64, s9, -v25
	v_fma_f16 v28, v62, s12, -v27
	v_mul_f16_e32 v29, 0xb836, v63
	v_pack_b32_f16 v75, v62, v62
	v_add_f16_e32 v19, v26, v19
	v_mul_f16_e32 v26, 0x39e9, v62
	v_add_f16_e32 v18, v28, v18
	v_mul_f16_e32 v28, 0xbacd, v62
	v_fma_f16 v30, v62, s8, -v29
	s_movk_i32 s8, 0x3722
	v_mul_f16_e32 v62, 0xbb29, v61
	v_pack_b32_f16 v72, v64, v64
	v_pack_b32_f16 v77, v63, v63
	;; [unrolled: 1-line block ×3, first 2 shown]
	v_mul_f16_e32 v20, 0xbacd, v64
	v_mul_f16_e32 v24, 0x3b76, v64
	v_fma_f16 v63, v60, s8, -v62
	v_mul_f16_e32 v61, 0x3964, v61
	v_mul_f16_e32 v64, 0xb1e1, v59
	v_pack_b32_f16 v68, v66, v66
	v_pack_b32_f16 v74, v65, v65
	;; [unrolled: 1-line block ×3, first 2 shown]
	v_pk_mul_f16 v79, v60, s13 op_sel_hi:[0,1]
	v_pack_b32_f16 v83, v59, v59
	v_mul_f16_e32 v16, 0xb461, v66
	v_mul_f16_e32 v21, 0xbbdd, v66
	v_add_f16_e32 v19, v30, v19
	v_mul_f16_e32 v30, 0x3722, v60
	v_add_f16_e32 v18, v63, v18
	v_mul_f16_e32 v63, 0x39e9, v60
	v_fma_f16 v60, v60, s12, -v61
	v_fma_f16 v65, v58, s1, -v64
	s_mov_b32 s1, 0xb8d2
	v_mul_f16_e32 v59, 0xba62, v59
	s_movk_i32 s12, 0x2de8
	v_mul_f16_e32 v66, 0x3bf7, v54
	v_pack_b32_f16 v70, v67, v67
	v_pack_b32_f16 v81, v58, v58
	v_pk_mul_f16 v82, v58, s14 op_sel_hi:[0,1]
	v_pack_b32_f16 v86, v54, v54
	v_add_f16_e32 v19, v60, v19
	v_mul_f16_e32 v60, 0xbbdd, v58
	v_add_f16_e32 v18, v18, v65
	v_mul_f16_e32 v65, 0xb8d2, v58
	v_fma_f16 v58, v58, s1, -v59
	v_fma_f16 v67, v51, s12, -v66
	v_mul_f16_e32 v54, 0x3b29, v54
	v_mul_f16_e32 v93, 0xb5c8, v47
	v_pack_b32_f16 v84, v51, v51
	v_pk_mul_f16 v85, v51, s15 op_sel_hi:[0,1]
	v_pack_b32_f16 v89, v47, v47
	v_add_f16_e32 v19, v19, v58
	v_mul_f16_e32 v58, 0x2de8, v51
	v_add_f16_e32 v18, v67, v18
	v_mul_f16_e32 v67, 0x3722, v51
	v_fma_f16 v51, v51, s8, -v54
	v_fma_f16 v94, v46, s9, -v93
	v_mul_f16_e32 v47, 0xbbb2, v47
	v_pack_b32_f16 v87, v46, v46
	v_pk_mul_f16 v88, v46, s18 op_sel_hi:[0,1]
	v_add_f16_e32 v19, v51, v19
	v_mul_f16_e32 v51, 0x3b76, v46
	v_add_f16_e32 v18, v18, v94
	v_mul_f16_e32 v94, 0xb461, v46
	v_fma_f16 v46, v46, s0, -v47
	v_perm_b32 v71, v10, v10, s20
	v_add_f16_e32 v46, v19, v46
	v_pk_add_f16 v19, v69, v48 neg_lo:[0,1] neg_hi:[0,1]
	v_pk_add_f16 v48, v73, v49 neg_lo:[0,1] neg_hi:[0,1]
	v_pk_add_f16 v19, v71, v19
	v_pk_mul_f16 v91, v44, s19 op_sel_hi:[0,1]
	v_pk_add_f16 v19, v48, v19
	v_pk_add_f16 v48, v76, v50 neg_lo:[0,1] neg_hi:[0,1]
	s_mov_b32 s8, 0xbbf7bb29
	v_pk_add_f16 v19, v48, v19
	v_pk_add_f16 v48, v79, v52 neg_lo:[0,1] neg_hi:[0,1]
	s_mov_b32 s0, 0x2de83722
	v_pk_add_f16 v19, v48, v19
	v_pk_add_f16 v48, v82, v53 neg_lo:[0,1] neg_hi:[0,1]
	v_pk_mul_f16 v49, v70, s8
	v_pk_add_f16 v19, v19, v48
	v_pk_add_f16 v48, v85, v55 neg_lo:[0,1] neg_hi:[0,1]
	v_pk_fma_f16 v52, v68, s0, v49 neg_lo:[0,0,1] neg_hi:[0,0,1]
	v_pk_add_f16 v19, v48, v19
	v_pk_add_f16 v48, v88, v56 neg_lo:[0,1] neg_hi:[0,1]
	s_mov_b32 s8, 0xb1e1ba62
	v_pk_add_f16 v19, v19, v48
	v_pk_add_f16 v48, v91, v57 neg_lo:[0,1] neg_hi:[0,1]
	v_pk_mul_f16 v55, v74, s8
	v_pk_add_f16 v48, v48, v19
	v_pk_mul_f16 v19, v68, s0
	s_mov_b32 s0, 0xbbddb8d2
	v_add_f16_e32 v50, v19, v49
	v_pk_mul_f16 v53, v72, s0
	v_add_f16_e32 v50, v10, v50
	v_add_f16_e32 v56, v53, v55
	v_pk_add_f16 v52, v71, v52
	v_add_f16_e32 v50, v56, v50
	v_pk_fma_f16 v56, v72, s0, v55 neg_lo:[0,0,1] neg_hi:[0,0,1]
	s_mov_b32 s0, 0xb461bbdd
	s_mov_b32 s8, 0x3bb231e1
	v_pk_add_f16 v52, v56, v52
	v_pk_mul_f16 v56, v75, s0
	v_pk_mul_f16 v57, v77, s8
	s_mov_b32 s8, 0x35c83bb2
	v_add_f16_e32 v69, v56, v57
	v_add_f16_e32 v50, v69, v50
	v_pk_fma_f16 v69, v75, s0, v57 neg_lo:[0,0,1] neg_hi:[0,0,1]
	s_mov_b32 s0, 0x3b76b461
	v_pk_add_f16 v52, v69, v52
	v_pk_mul_f16 v69, v78, s0
	v_pk_mul_f16 v73, v80, s8
	s_mov_b32 s8, 0xbb293964
	v_add_f16_e32 v76, v69, v73
	v_add_f16_e32 v50, v76, v50
	v_pk_fma_f16 v76, v78, s0, v73 neg_lo:[0,0,1] neg_hi:[0,0,1]
	;; [unrolled: 8-line block ×4, first 2 shown]
	s_mov_b32 s0, 0xb8d22de8
	v_pk_add_f16 v52, v88, v52
	v_pk_mul_f16 v88, v87, s0
	v_pk_mul_f16 v91, v89, s8
	v_pack_b32_f16 v92, v45, v45
	v_add_f16_e32 v95, v88, v91
	s_mov_b32 s8, 0x3964b836
	v_pack_b32_f16 v90, v44, v44
	v_add_f16_e32 v50, v50, v95
	v_pk_fma_f16 v95, v87, s0, v91 neg_lo:[0,0,1] neg_hi:[0,0,1]
	s_mov_b32 s0, 0x39e9bacd
	v_pk_mul_f16 v96, v92, s8
	v_pk_add_f16 v52, v52, v95
	v_pk_mul_f16 v95, v90, s0
	v_pk_fma_f16 v97, v90, s0, v96 neg_lo:[0,0,1] neg_hi:[0,0,1]
	s_mov_b32 s0, 0xffff
	v_bfi_b32 v16, s0, v16, v19
	v_bfi_b32 v17, s0, v17, v49
	v_pk_add_f16 v16, v16, v17
	v_bfi_b32 v17, s0, v20, v53
	v_bfi_b32 v19, s0, v23, v55
	v_pk_add_f16 v16, v71, v16
	v_pk_add_f16 v17, v17, v19
	v_bfi_b32 v19, s0, v27, v57
	v_pk_add_f16 v16, v17, v16
	v_bfi_b32 v17, s0, v26, v56
	;; [unrolled: 2-line block ×8, first 2 shown]
	v_pk_add_f16 v17, v17, v19
	v_add_f16_e32 v98, v95, v96
	v_pk_add_f16 v16, v17, v16
	v_bfi_b32 v17, s0, v51, v88
	v_bfi_b32 v19, s0, v93, v91
	v_add_f16_e32 v50, v98, v50
	v_pk_add_f16 v52, v97, v52
	v_mul_f16_e32 v97, 0xb8d2, v44
	v_mul_f16_e32 v98, 0xba62, v45
	v_pk_add_f16 v17, v17, v19
	v_bfi_b32 v19, s0, v98, v96
	v_pk_add_f16 v16, v16, v17
	v_bfi_b32 v17, s0, v97, v95
	v_fma_f16 v99, v44, s1, -v98
	v_pk_add_f16 v17, v17, v19
	s_mov_b32 s1, 0xbacdb8d2
	s_mov_b32 s8, 0xb836ba62
	v_pk_add_f16 v20, v17, v16
	v_pk_mul_f16 v16, v68, s1
	v_pk_mul_f16 v17, v70, s8
	s_mov_b32 s8, 0x3b293bb2
	v_add_f16_e32 v19, v16, v17
	v_add_f16_e32 v10, v10, v19
	v_pk_fma_f16 v19, v68, s1, v17 neg_lo:[0,0,1] neg_hi:[0,0,1]
	s_mov_b32 s1, 0x3722b461
	v_pk_mul_f16 v23, v72, s1
	v_pk_mul_f16 v26, v74, s8
	v_pk_add_f16 v19, v71, v19
	v_add_f16_e32 v27, v23, v26
	v_add_f16_e32 v10, v27, v10
	v_pk_fma_f16 v27, v72, s1, v26 neg_lo:[0,0,1] neg_hi:[0,0,1]
	s_mov_b32 s1, 0x2de83b76
	s_mov_b32 s8, 0xbbf7b5c8
	v_pk_add_f16 v19, v27, v19
	v_pk_mul_f16 v27, v75, s1
	v_pk_mul_f16 v30, v77, s8
	s_mov_b32 s8, 0x3a62b836
	v_add_f16_e32 v49, v27, v30
	v_add_f16_e32 v10, v49, v10
	v_pk_fma_f16 v49, v75, s1, v30 neg_lo:[0,0,1] neg_hi:[0,0,1]
	s_mov_b32 s1, 0xb8d2bacd
	v_pk_add_f16 v19, v49, v19
	v_pk_mul_f16 v49, v78, s1
	v_pk_mul_f16 v51, v80, s8
	v_bfi_b32 v16, s0, v21, v16
	v_add_f16_e32 v53, v49, v51
	v_bfi_b32 v17, s0, v22, v17
	v_add_f16_e32 v10, v53, v10
	v_pk_fma_f16 v53, v78, s1, v51 neg_lo:[0,0,1] neg_hi:[0,0,1]
	s_mov_b32 s1, 0x3b762de8
	s_mov_b32 s8, 0xb5c83bf7
	v_pk_add_f16 v16, v16, v17
	v_bfi_b32 v17, s0, v24, v23
	v_bfi_b32 v21, s0, v25, v26
	v_pk_add_f16 v19, v53, v19
	v_pk_mul_f16 v53, v81, s1
	v_pk_mul_f16 v55, v83, s8
	v_pk_add_f16 v16, v71, v16
	v_pk_add_f16 v17, v17, v21
	v_add_f16_e32 v56, v53, v55
	v_pk_add_f16 v16, v17, v16
	v_bfi_b32 v17, s0, v28, v27
	v_bfi_b32 v21, s0, v29, v30
	v_add_f16_e32 v10, v10, v56
	v_pk_fma_f16 v56, v81, s1, v55 neg_lo:[0,0,1] neg_hi:[0,0,1]
	s_mov_b32 s1, 0xbbdd39e9
	s_mov_b32 s8, 0xb1e1b964
	v_pk_add_f16 v17, v17, v21
	v_pk_add_f16 v19, v19, v56
	v_pk_mul_f16 v56, v84, s1
	v_pk_mul_f16 v57, v86, s8
	v_pk_add_f16 v16, v17, v16
	v_bfi_b32 v17, s0, v63, v49
	v_bfi_b32 v21, s0, v61, v51
	v_add_f16_e32 v58, v56, v57
	v_pk_add_f16 v17, v17, v21
	v_add_f16_e32 v10, v58, v10
	v_pk_fma_f16 v58, v84, s1, v57 neg_lo:[0,0,1] neg_hi:[0,0,1]
	s_mov_b32 s1, 0x39e9bbdd
	s_mov_b32 s8, 0x3964b1e1
	v_pk_add_f16 v16, v17, v16
	v_bfi_b32 v17, s0, v65, v53
	v_bfi_b32 v21, s0, v59, v55
	v_pk_add_f16 v19, v58, v19
	v_pk_mul_f16 v58, v87, s1
	v_pk_mul_f16 v60, v89, s8
	v_pk_add_f16 v17, v17, v21
	v_add_f16_e32 v62, v58, v60
	s_mov_b32 s8, 0xbbb23b29
	v_pk_add_f16 v16, v16, v17
	v_bfi_b32 v17, s0, v67, v56
	v_bfi_b32 v21, s0, v54, v57
	v_add_f16_e32 v10, v10, v62
	v_pk_fma_f16 v62, v87, s1, v60 neg_lo:[0,0,1] neg_hi:[0,0,1]
	s_mov_b32 s1, 0xb4613722
	v_pk_mul_f16 v64, v92, s8
	v_pk_add_f16 v17, v17, v21
	v_pk_add_f16 v19, v19, v62
	v_pk_fma_f16 v66, v90, s1, v64 neg_lo:[0,0,1] neg_hi:[0,0,1]
	v_pk_add_f16 v16, v17, v16
	v_bfi_b32 v17, s0, v94, v58
	v_bfi_b32 v21, s0, v47, v60
	v_pk_mul_f16 v62, v90, s1
	v_pk_add_f16 v19, v66, v19
	v_mul_f16_e32 v66, 0x2de8, v44
	v_mul_f16_e32 v45, 0x3bf7, v45
	v_pk_add_f16 v17, v17, v21
	v_bfi_b32 v21, s0, v45, v64
	v_pk_add_f16 v16, v16, v17
	v_bfi_b32 v17, s0, v66, v62
	v_add_f16_e32 v18, v99, v18
	v_add_f16_e32 v68, v62, v64
	v_fma_f16 v44, v44, s12, -v45
	v_pk_add_f16 v17, v17, v21
	v_add_f16_e32 v10, v68, v10
	v_add_f16_e32 v44, v44, v46
	v_pk_add_f16 v21, v17, v16
	v_lshl_add_u32 v22, v8, 5, v0
	v_alignbit_b32 v18, v18, v52, 16
	v_pack_b32_f16 v17, v48, v52
	v_bfi_b32 v16, s0, v15, v48
	ds_write_b128 v22, v[16:19]
	v_alignbit_b32 v19, v10, v21, 16
	v_pack_b32_f16 v18, v44, v21
	ds_write_b96 v22, v[18:20] offset:16
	ds_write_b16 v22, v50 offset:28
	ds_write_b32 v22, v7 offset:30
.LBB0_15:
	s_or_b64 exec, exec, s[6:7]
	v_add_u32_e32 v10, 0x77, v8
	s_movk_i32 s0, 0xf1
	v_mul_lo_u16_sdwa v15, v8, s0 dst_sel:DWORD dst_unused:UNUSED_PAD src0_sel:BYTE_0 src1_sel:DWORD
	v_mul_lo_u16_sdwa v18, v10, s0 dst_sel:DWORD dst_unused:UNUSED_PAD src0_sel:BYTE_0 src1_sel:DWORD
	s_mov_b32 s0, 0xf0f1
	v_mul_u32_u24_sdwa v19, v9, s0 dst_sel:DWORD dst_unused:UNUSED_PAD src0_sel:WORD_0 src1_sel:DWORD
	v_mul_u32_u24_sdwa v21, v43, s0 dst_sel:DWORD dst_unused:UNUSED_PAD src0_sel:WORD_0 src1_sel:DWORD
	v_lshrrev_b16_e32 v15, 12, v15
	v_lshrrev_b16_e32 v27, 12, v18
	v_lshrrev_b32_e32 v29, 20, v19
	v_lshrrev_b32_e32 v44, 20, v21
	v_add_u32_e32 v24, 0x1dc, v8
	v_mul_lo_u16_e32 v16, 17, v15
	v_mul_lo_u16_e32 v18, 17, v27
	;; [unrolled: 1-line block ×4, first 2 shown]
	v_mul_u32_u24_sdwa v25, v24, s0 dst_sel:DWORD dst_unused:UNUSED_PAD src0_sel:WORD_0 src1_sel:DWORD
	v_sub_u16_e32 v26, v8, v16
	v_mov_b32_e32 v16, 3
	v_sub_u16_e32 v28, v10, v18
	v_sub_u16_e32 v30, v9, v19
	v_sub_u16_e32 v43, v43, v22
	v_lshrrev_b32_e32 v45, 20, v25
	v_lshlrev_b32_sdwa v17, v16, v26 dst_sel:DWORD dst_unused:UNUSED_PAD src0_sel:DWORD src1_sel:BYTE_0
	v_lshlrev_b32_sdwa v18, v16, v28 dst_sel:DWORD dst_unused:UNUSED_PAD src0_sel:DWORD src1_sel:BYTE_0
	v_lshlrev_b32_e32 v20, 3, v30
	v_lshlrev_b32_e32 v22, 3, v43
	v_mul_lo_u16_e32 v25, 17, v45
	s_load_dwordx2 s[2:3], s[2:3], 0x0
	s_waitcnt lgkmcnt(0)
	s_barrier
	global_load_dwordx2 v[16:17], v17, s[4:5]
	v_sub_u16_e32 v46, v24, v25
	global_load_dwordx2 v[18:19], v18, s[4:5]
	v_lshlrev_b32_e32 v24, 3, v46
	global_load_dwordx2 v[20:21], v20, s[4:5]
	s_mov_b32 s0, 0xbaee
	global_load_dwordx2 v[22:23], v22, s[4:5]
	s_movk_i32 s1, 0x3aee
	global_load_dwordx2 v[24:25], v24, s[4:5]
	ds_read_u16 v47, v0
	ds_read_u16 v48, v0 offset:238
	ds_read_u16 v49, v11
	ds_read_u16 v50, v0 offset:2380
	ds_read_u16 v51, v0 offset:2618
	;; [unrolled: 1-line block ×10, first 2 shown]
	ds_read_u16 v60, v1
	ds_read_u16 v61, v0 offset:3332
	v_mov_b32_e32 v62, 1
	v_lshlrev_b32_sdwa v26, v62, v26 dst_sel:DWORD dst_unused:UNUSED_PAD src0_sel:DWORD src1_sel:BYTE_0
	v_lshlrev_b32_sdwa v28, v62, v28 dst_sel:DWORD dst_unused:UNUSED_PAD src0_sel:DWORD src1_sel:BYTE_0
	v_mul_u32_u24_e32 v15, 0x66, v15
	v_add3_u32 v15, 0, v15, v26
	s_waitcnt lgkmcnt(0)
	s_barrier
	v_lshlrev_b32_e32 v30, 1, v30
	v_lshlrev_b32_e32 v43, 1, v43
	s_mov_b32 s9, 0xbb9c
	s_movk_i32 s13, 0x3b9c
	s_mov_b32 s8, 0xb8b4
	s_movk_i32 s14, 0x38b4
	s_movk_i32 s12, 0x34f2
	s_waitcnt vmcnt(4)
	v_mul_f16_sdwa v65, v50, v17 dst_sel:DWORD dst_unused:UNUSED_PAD src0_sel:DWORD src1_sel:WORD_1
	v_mul_f16_sdwa v66, v39, v17 dst_sel:DWORD dst_unused:UNUSED_PAD src0_sel:DWORD src1_sel:WORD_1
	v_fma_f16 v39, v39, v17, v65
	v_fma_f16 v17, v50, v17, -v66
	v_mul_f16_sdwa v63, v58, v16 dst_sel:DWORD dst_unused:UNUSED_PAD src0_sel:DWORD src1_sel:WORD_1
	v_mul_f16_sdwa v64, v42, v16 dst_sel:DWORD dst_unused:UNUSED_PAD src0_sel:DWORD src1_sel:WORD_1
	s_waitcnt vmcnt(1)
	v_mul_f16_sdwa v77, v53, v23 dst_sel:DWORD dst_unused:UNUSED_PAD src0_sel:DWORD src1_sel:WORD_1
	v_fma_f16 v50, v33, v23, v77
	v_mul_f16_sdwa v33, v33, v23 dst_sel:DWORD dst_unused:UNUSED_PAD src0_sel:DWORD src1_sel:WORD_1
	v_fma_f16 v23, v53, v23, -v33
	v_lshlrev_b32_e32 v33, 1, v46
	s_waitcnt vmcnt(0)
	v_mul_f16_sdwa v46, v57, v24 dst_sel:DWORD dst_unused:UNUSED_PAD src0_sel:DWORD src1_sel:WORD_1
	v_fma_f16 v46, v34, v24, v46
	v_mul_f16_sdwa v34, v34, v24 dst_sel:DWORD dst_unused:UNUSED_PAD src0_sel:DWORD src1_sel:WORD_1
	v_mul_f16_sdwa v69, v51, v19 dst_sel:DWORD dst_unused:UNUSED_PAD src0_sel:DWORD src1_sel:WORD_1
	;; [unrolled: 1-line block ×3, first 2 shown]
	v_fma_f16 v42, v42, v16, v63
	v_fma_f16 v24, v57, v24, -v34
	v_mul_f16_sdwa v34, v61, v25 dst_sel:DWORD dst_unused:UNUSED_PAD src0_sel:DWORD src1_sel:WORD_1
	v_fma_f16 v16, v58, v16, -v64
	v_fma_f16 v37, v37, v19, v69
	v_fma_f16 v19, v51, v19, -v70
	v_fma_f16 v34, v35, v25, v34
	v_mul_f16_sdwa v35, v35, v25 dst_sel:DWORD dst_unused:UNUSED_PAD src0_sel:DWORD src1_sel:WORD_1
	v_add_f16_e32 v51, v42, v39
	v_mul_f16_sdwa v67, v54, v18 dst_sel:DWORD dst_unused:UNUSED_PAD src0_sel:DWORD src1_sel:WORD_1
	v_mul_f16_sdwa v73, v52, v21 dst_sel:DWORD dst_unused:UNUSED_PAD src0_sel:DWORD src1_sel:WORD_1
	;; [unrolled: 1-line block ×3, first 2 shown]
	v_fma_f16 v25, v61, v25, -v35
	v_add_f16_e32 v35, v32, v42
	v_fma_f16 v32, v51, -0.5, v32
	v_sub_f16_e32 v51, v16, v17
	v_mul_f16_sdwa v68, v41, v18 dst_sel:DWORD dst_unused:UNUSED_PAD src0_sel:DWORD src1_sel:WORD_1
	v_fma_f16 v41, v41, v18, v67
	v_fma_f16 v36, v36, v21, v73
	v_fma_f16 v21, v52, v21, -v74
	v_fma_f16 v52, v51, s0, v32
	v_fma_f16 v32, v51, s1, v32
	v_add_f16_e32 v51, v47, v16
	v_add_f16_e32 v16, v16, v17
	v_fma_f16 v18, v54, v18, -v68
	v_add_f16_e32 v51, v51, v17
	v_fma_f16 v16, v16, -0.5, v47
	v_sub_f16_e32 v17, v42, v39
	v_add_f16_e32 v42, v41, v37
	v_mul_f16_sdwa v71, v55, v20 dst_sel:DWORD dst_unused:UNUSED_PAD src0_sel:DWORD src1_sel:WORD_1
	v_add_f16_e32 v35, v35, v39
	v_fma_f16 v39, v17, s1, v16
	v_fma_f16 v16, v17, s0, v16
	v_add_f16_e32 v17, v14, v41
	v_fma_f16 v14, v42, -0.5, v14
	v_sub_f16_e32 v42, v18, v19
	v_mul_f16_sdwa v72, v40, v20 dst_sel:DWORD dst_unused:UNUSED_PAD src0_sel:DWORD src1_sel:WORD_1
	v_fma_f16 v40, v40, v20, v71
	v_fma_f16 v47, v42, s0, v14
	;; [unrolled: 1-line block ×3, first 2 shown]
	v_add_f16_e32 v42, v48, v18
	v_add_f16_e32 v18, v18, v19
	v_fma_f16 v20, v55, v20, -v72
	v_add_f16_e32 v42, v42, v19
	v_fma_f16 v18, v18, -0.5, v48
	v_sub_f16_e32 v19, v41, v37
	v_add_f16_e32 v41, v40, v36
	v_mul_f16_sdwa v75, v56, v22 dst_sel:DWORD dst_unused:UNUSED_PAD src0_sel:DWORD src1_sel:WORD_1
	v_add_f16_e32 v17, v17, v37
	v_fma_f16 v37, v19, s1, v18
	v_fma_f16 v18, v19, s0, v18
	v_add_f16_e32 v19, v31, v40
	v_fma_f16 v31, v41, -0.5, v31
	v_sub_f16_e32 v41, v20, v21
	v_mul_f16_sdwa v76, v38, v22 dst_sel:DWORD dst_unused:UNUSED_PAD src0_sel:DWORD src1_sel:WORD_1
	v_fma_f16 v38, v38, v22, v75
	v_fma_f16 v48, v41, s0, v31
	;; [unrolled: 1-line block ×3, first 2 shown]
	v_add_f16_e32 v41, v60, v20
	v_add_f16_e32 v20, v20, v21
	v_fma_f16 v22, v56, v22, -v76
	v_add_f16_e32 v41, v41, v21
	v_fma_f16 v20, v20, -0.5, v60
	v_sub_f16_e32 v21, v40, v36
	v_add_f16_e32 v40, v38, v50
	v_add_f16_e32 v19, v19, v36
	v_fma_f16 v36, v21, s1, v20
	v_fma_f16 v20, v21, s0, v20
	v_add_f16_e32 v21, v13, v38
	v_fma_f16 v13, v40, -0.5, v13
	v_sub_f16_e32 v40, v22, v23
	v_fma_f16 v53, v40, s0, v13
	v_fma_f16 v13, v40, s1, v13
	v_add_f16_e32 v40, v49, v22
	v_add_f16_e32 v22, v22, v23
	;; [unrolled: 1-line block ×3, first 2 shown]
	v_fma_f16 v22, v22, -0.5, v49
	v_sub_f16_e32 v23, v38, v50
	v_add_f16_e32 v49, v46, v34
	v_fma_f16 v38, v23, s1, v22
	v_fma_f16 v22, v23, s0, v22
	v_add_f16_e32 v23, v12, v46
	v_fma_f16 v12, v49, -0.5, v12
	v_sub_f16_e32 v49, v24, v25
	v_add_f16_e32 v21, v21, v50
	v_fma_f16 v50, v49, s0, v12
	v_fma_f16 v12, v49, s1, v12
	v_add_f16_e32 v49, v59, v24
	v_add_f16_e32 v24, v24, v25
	v_add_f16_e32 v49, v49, v25
	v_fma_f16 v24, v24, -0.5, v59
	v_sub_f16_e32 v25, v46, v34
	v_add_f16_e32 v23, v23, v34
	v_fma_f16 v34, v25, s1, v24
	v_fma_f16 v24, v25, s0, v24
	v_mul_u32_u24_e32 v25, 0x66, v27
	v_add3_u32 v25, 0, v25, v28
	s_movk_i32 s0, 0x66
	ds_write_b16 v15, v35
	ds_write_b16 v15, v52 offset:34
	ds_write_b16 v15, v32 offset:68
	ds_write_b16 v25, v17
	ds_write_b16 v25, v47 offset:34
	ds_write_b16 v25, v14 offset:68
	v_perm_b32 v14, v44, v29, s20
	v_pk_mul_lo_u16 v14, v14, s0 op_sel_hi:[1,0]
	s_movk_i32 s0, 0xa1
	v_and_b32_e32 v17, 0xfffe, v14
	v_lshrrev_b32_e32 v14, 16, v14
	v_add3_u32 v17, 0, v17, v30
	v_add3_u32 v14, 0, v14, v43
	ds_write_b16 v17, v19
	ds_write_b16 v17, v48 offset:34
	ds_write_b16 v17, v31 offset:68
	ds_write_b16 v14, v21
	ds_write_b16 v14, v53 offset:34
	ds_write_b16 v14, v13 offset:68
	v_mul_u32_u24_e32 v13, 0x66, v45
	v_add3_u32 v13, 0, v13, v33
	ds_write_b16 v13, v23
	ds_write_b16 v13, v50 offset:34
	ds_write_b16 v13, v12 offset:68
	v_mul_lo_u16_sdwa v12, v8, s0 dst_sel:DWORD dst_unused:UNUSED_PAD src0_sel:BYTE_0 src1_sel:DWORD
	s_waitcnt lgkmcnt(0)
	s_barrier
	ds_read_u16 v26, v0
	ds_read_u16 v27, v0 offset:238
	ds_read_u16 v28, v0 offset:952
	;; [unrolled: 1-line block ×9, first 2 shown]
	ds_read_u16 v44, v11
	ds_read_u16 v57, v1
	ds_read_u16 v58, v0 offset:3332
	ds_read_u16 v45, v0 offset:2856
	;; [unrolled: 1-line block ×3, first 2 shown]
	s_waitcnt lgkmcnt(0)
	s_barrier
	ds_write_b16 v15, v51
	ds_write_b16 v15, v39 offset:34
	ds_write_b16 v15, v16 offset:68
	ds_write_b16 v25, v42
	ds_write_b16 v25, v37 offset:34
	ds_write_b16 v25, v18 offset:68
	;; [unrolled: 3-line block ×5, first 2 shown]
	v_lshrrev_b16_e32 v34, 13, v12
	v_mul_lo_u16_e32 v12, 51, v34
	v_sub_u16_e32 v60, v8, v12
	v_mov_b32_e32 v16, 4
	v_lshlrev_b32_sdwa v12, v16, v60 dst_sel:DWORD dst_unused:UNUSED_PAD src0_sel:DWORD src1_sel:BYTE_0
	s_waitcnt lgkmcnt(0)
	s_barrier
	global_load_dwordx4 v[12:15], v12, s[4:5] offset:136
	v_mul_lo_u16_sdwa v17, v10, s0 dst_sel:DWORD dst_unused:UNUSED_PAD src0_sel:BYTE_0 src1_sel:DWORD
	v_lshrrev_b16_e32 v61, 13, v17
	v_mul_lo_u16_e32 v17, 51, v61
	v_sub_u16_e32 v63, v10, v17
	v_lshlrev_b32_sdwa v16, v16, v63 dst_sel:DWORD dst_unused:UNUSED_PAD src0_sel:DWORD src1_sel:BYTE_0
	global_load_dwordx4 v[18:21], v16, s[4:5] offset:136
	s_mov_b32 s0, 0xa0a1
	v_mul_u32_u24_sdwa v16, v9, s0 dst_sel:DWORD dst_unused:UNUSED_PAD src0_sel:WORD_0 src1_sel:DWORD
	v_lshrrev_b32_e32 v64, 21, v16
	v_mul_lo_u16_e32 v16, 51, v64
	v_sub_u16_e32 v65, v9, v16
	v_lshlrev_b32_e32 v16, 4, v65
	global_load_dwordx4 v[22:25], v16, s[4:5] offset:136
	ds_read_u16 v35, v0
	ds_read_u16 v16, v0 offset:238
	ds_read_u16 v36, v0 offset:952
	;; [unrolled: 1-line block ×9, first 2 shown]
	ds_read_u16 v11, v11
	ds_read_u16 v17, v1
	ds_read_u16 v68, v0 offset:3332
	ds_read_u16 v41, v0 offset:2856
	;; [unrolled: 1-line block ×3, first 2 shown]
	s_waitcnt lgkmcnt(0)
	s_barrier
	v_cmp_gt_u32_e64 s[0:1], 17, v8
	s_waitcnt vmcnt(2)
	v_mul_f16_sdwa v47, v11, v12 dst_sel:DWORD dst_unused:UNUSED_PAD src0_sel:DWORD src1_sel:WORD_1
	v_fma_f16 v52, v44, v12, v47
	v_mul_f16_sdwa v44, v44, v12 dst_sel:DWORD dst_unused:UNUSED_PAD src0_sel:DWORD src1_sel:WORD_1
	v_fma_f16 v44, v11, v12, -v44
	v_mul_f16_sdwa v11, v40, v13 dst_sel:DWORD dst_unused:UNUSED_PAD src0_sel:DWORD src1_sel:WORD_1
	v_fma_f16 v54, v43, v13, v11
	v_mul_f16_sdwa v11, v43, v13 dst_sel:DWORD dst_unused:UNUSED_PAD src0_sel:DWORD src1_sel:WORD_1
	v_fma_f16 v48, v40, v13, -v11
	v_mul_f16_sdwa v11, v37, v14 dst_sel:DWORD dst_unused:UNUSED_PAD src0_sel:DWORD src1_sel:WORD_1
	v_fma_f16 v55, v32, v14, v11
	v_mul_f16_sdwa v11, v32, v14 dst_sel:DWORD dst_unused:UNUSED_PAD src0_sel:DWORD src1_sel:WORD_1
	v_fma_f16 v49, v37, v14, -v11
	v_mul_f16_sdwa v11, v41, v15 dst_sel:DWORD dst_unused:UNUSED_PAD src0_sel:DWORD src1_sel:WORD_1
	v_fma_f16 v56, v45, v15, v11
	v_mul_f16_sdwa v11, v45, v15 dst_sel:DWORD dst_unused:UNUSED_PAD src0_sel:DWORD src1_sel:WORD_1
	v_fma_f16 v51, v41, v15, -v11
	s_waitcnt vmcnt(1)
	v_mul_f16_sdwa v11, v36, v18 dst_sel:DWORD dst_unused:UNUSED_PAD src0_sel:DWORD src1_sel:WORD_1
	v_fma_f16 v45, v28, v18, v11
	v_mul_f16_sdwa v11, v28, v18 dst_sel:DWORD dst_unused:UNUSED_PAD src0_sel:DWORD src1_sel:WORD_1
	v_fma_f16 v37, v36, v18, -v11
	v_mul_f16_sdwa v11, v38, v19 dst_sel:DWORD dst_unused:UNUSED_PAD src0_sel:DWORD src1_sel:WORD_1
	v_fma_f16 v47, v29, v19, v11
	v_mul_f16_sdwa v11, v29, v19 dst_sel:DWORD dst_unused:UNUSED_PAD src0_sel:DWORD src1_sel:WORD_1
	v_fma_f16 v40, v38, v19, -v11
	v_mul_f16_sdwa v11, v39, v20 dst_sel:DWORD dst_unused:UNUSED_PAD src0_sel:DWORD src1_sel:WORD_1
	v_fma_f16 v50, v30, v20, v11
	v_mul_f16_sdwa v11, v30, v20 dst_sel:DWORD dst_unused:UNUSED_PAD src0_sel:DWORD src1_sel:WORD_1
	v_fma_f16 v41, v39, v20, -v11
	v_mul_f16_sdwa v11, v42, v21 dst_sel:DWORD dst_unused:UNUSED_PAD src0_sel:DWORD src1_sel:WORD_1
	v_fma_f16 v53, v31, v21, v11
	v_mul_f16_sdwa v11, v31, v21 dst_sel:DWORD dst_unused:UNUSED_PAD src0_sel:DWORD src1_sel:WORD_1
	v_fma_f16 v43, v42, v21, -v11
	;; [unrolled: 17-line block ×3, first 2 shown]
	v_add_f16_e32 v11, v26, v52
	v_add_f16_e32 v11, v11, v54
	;; [unrolled: 1-line block ×5, first 2 shown]
	v_fma_f16 v11, v11, -0.5, v26
	v_sub_f16_e32 v13, v44, v51
	v_fma_f16 v14, v13, s9, v11
	v_sub_f16_e32 v15, v48, v49
	v_sub_f16_e32 v21, v52, v54
	;; [unrolled: 1-line block ×3, first 2 shown]
	v_fma_f16 v11, v13, s13, v11
	v_fma_f16 v14, v15, s8, v14
	v_add_f16_e32 v21, v21, v22
	v_fma_f16 v11, v15, s14, v11
	v_fma_f16 v14, v21, s12, v14
	;; [unrolled: 1-line block ×3, first 2 shown]
	v_add_f16_e32 v11, v52, v56
	v_fma_f16 v11, v11, -0.5, v26
	v_fma_f16 v22, v15, s13, v11
	v_sub_f16_e32 v23, v54, v52
	v_sub_f16_e32 v24, v55, v56
	v_fma_f16 v11, v15, s9, v11
	v_add_f16_e32 v23, v23, v24
	v_fma_f16 v11, v13, s14, v11
	v_fma_f16 v22, v13, s8, v22
	;; [unrolled: 1-line block ×3, first 2 shown]
	v_add_f16_e32 v11, v27, v45
	v_add_f16_e32 v11, v11, v47
	;; [unrolled: 1-line block ×5, first 2 shown]
	v_fma_f16 v22, v23, s12, v22
	v_fma_f16 v11, v11, -0.5, v27
	v_sub_f16_e32 v23, v37, v43
	v_fma_f16 v24, v23, s9, v11
	v_sub_f16_e32 v25, v40, v41
	v_sub_f16_e32 v26, v45, v47
	;; [unrolled: 1-line block ×3, first 2 shown]
	v_fma_f16 v11, v23, s13, v11
	v_fma_f16 v24, v25, s8, v24
	v_add_f16_e32 v26, v26, v28
	v_fma_f16 v11, v25, s14, v11
	v_fma_f16 v24, v26, s12, v24
	;; [unrolled: 1-line block ×3, first 2 shown]
	v_add_f16_e32 v11, v45, v53
	v_fma_f16 v11, v11, -0.5, v27
	v_fma_f16 v27, v25, s13, v11
	v_sub_f16_e32 v28, v47, v45
	v_sub_f16_e32 v29, v50, v53
	v_fma_f16 v11, v25, s9, v11
	v_add_f16_e32 v28, v28, v29
	v_fma_f16 v11, v23, s14, v11
	v_fma_f16 v27, v23, s8, v27
	;; [unrolled: 1-line block ×3, first 2 shown]
	v_add_f16_e32 v11, v57, v38
	v_add_f16_e32 v11, v11, v39
	;; [unrolled: 1-line block ×5, first 2 shown]
	v_fma_f16 v27, v28, s12, v27
	v_fma_f16 v11, v11, -0.5, v57
	v_sub_f16_e32 v28, v18, v36
	v_fma_f16 v29, v28, s9, v11
	v_sub_f16_e32 v30, v19, v20
	v_sub_f16_e32 v31, v38, v39
	;; [unrolled: 1-line block ×3, first 2 shown]
	v_fma_f16 v11, v28, s13, v11
	v_fma_f16 v29, v30, s8, v29
	v_add_f16_e32 v31, v31, v32
	v_fma_f16 v11, v30, s14, v11
	v_fma_f16 v29, v31, s12, v29
	;; [unrolled: 1-line block ×3, first 2 shown]
	v_add_f16_e32 v31, v38, v46
	v_fma_f16 v31, v31, -0.5, v57
	v_fma_f16 v32, v30, s13, v31
	v_fma_f16 v30, v30, s9, v31
	v_fma_f16 v32, v28, s8, v32
	v_sub_f16_e32 v33, v39, v38
	v_sub_f16_e32 v57, v42, v46
	v_fma_f16 v28, v28, s14, v30
	v_mul_u32_u24_e32 v30, 0x1fe, v34
	v_lshlrev_b32_sdwa v31, v62, v60 dst_sel:DWORD dst_unused:UNUSED_PAD src0_sel:DWORD src1_sel:BYTE_0
	v_add_f16_e32 v33, v33, v57
	v_add3_u32 v57, 0, v30, v31
	ds_write_b16 v57, v12
	ds_write_b16 v57, v14 offset:102
	ds_write_b16 v57, v22 offset:204
	;; [unrolled: 1-line block ×4, first 2 shown]
	v_mul_u32_u24_e32 v12, 0x1fe, v61
	v_lshlrev_b32_sdwa v13, v62, v63 dst_sel:DWORD dst_unused:UNUSED_PAD src0_sel:DWORD src1_sel:BYTE_0
	v_add3_u32 v58, 0, v12, v13
	v_mul_u32_u24_e32 v12, 0x1fe, v64
	v_lshlrev_b32_e32 v13, 1, v65
	v_fma_f16 v32, v33, s12, v32
	v_fma_f16 v28, v33, s12, v28
	v_add3_u32 v59, 0, v12, v13
	ds_write_b16 v58, v15
	ds_write_b16 v58, v24 offset:102
	ds_write_b16 v58, v27 offset:204
	;; [unrolled: 1-line block ×4, first 2 shown]
	ds_write_b16 v59, v25
	ds_write_b16 v59, v29 offset:102
	ds_write_b16 v59, v32 offset:204
	;; [unrolled: 1-line block ×4, first 2 shown]
	s_waitcnt lgkmcnt(0)
	s_barrier
	ds_read_u16 v21, v0
	ds_read_u16 v22, v0 offset:2040
	ds_read_u16 v30, v0 offset:1768
	;; [unrolled: 1-line block ×13, first 2 shown]
                                        ; implicit-def: $vgpr12
                                        ; implicit-def: $vgpr13
                                        ; implicit-def: $vgpr14
                                        ; implicit-def: $vgpr15
	s_and_saveexec_b64 s[6:7], s[0:1]
	s_cbranch_execz .LBB0_17
; %bb.16:
	ds_read_u16 v6, v0 offset:986
	ds_read_u16 v60, v0 offset:1496
	;; [unrolled: 1-line block ×5, first 2 shown]
	ds_read_u16 v11, v1
	ds_read_u16 v13, v0 offset:3536
	s_mov_b32 s15, 0x5040100
	s_waitcnt lgkmcnt(5)
	v_perm_b32 v6, v60, v6, s15
.LBB0_17:
	s_or_b64 exec, exec, s[6:7]
	v_add_f16_e32 v61, v48, v49
	v_fma_f16 v61, v61, -0.5, v35
	v_sub_f16_e32 v52, v52, v56
	v_fma_f16 v56, v52, s13, v61
	v_sub_f16_e32 v54, v54, v55
	v_add_f16_e32 v60, v35, v44
	v_fma_f16 v55, v54, s14, v56
	v_sub_f16_e32 v56, v44, v48
	v_sub_f16_e32 v62, v51, v49
	v_fma_f16 v61, v52, s9, v61
	v_add_f16_e32 v60, v60, v48
	v_add_f16_e32 v56, v56, v62
	v_fma_f16 v61, v54, s8, v61
	v_add_f16_e32 v60, v60, v49
	v_fma_f16 v55, v56, s12, v55
	v_fma_f16 v56, v56, s12, v61
	v_add_f16_e32 v61, v44, v51
	v_sub_f16_e32 v44, v48, v44
	v_sub_f16_e32 v48, v49, v51
	v_add_f16_e32 v49, v40, v41
	v_fma_f16 v35, v61, -0.5, v35
	v_fma_f16 v49, v49, -0.5, v16
	v_sub_f16_e32 v45, v45, v53
	v_add_f16_e32 v60, v60, v51
	v_fma_f16 v61, v54, s9, v35
	v_fma_f16 v35, v54, s13, v35
	;; [unrolled: 1-line block ×3, first 2 shown]
	v_sub_f16_e32 v47, v47, v50
	v_fma_f16 v61, v52, s14, v61
	v_fma_f16 v35, v52, s8, v35
	;; [unrolled: 1-line block ×3, first 2 shown]
	v_sub_f16_e32 v51, v37, v40
	v_sub_f16_e32 v52, v43, v41
	v_fma_f16 v49, v45, s9, v49
	v_add_f16_e32 v51, v51, v52
	v_fma_f16 v49, v47, s8, v49
	v_add_f16_e32 v44, v44, v48
	v_fma_f16 v50, v51, s12, v50
	v_fma_f16 v49, v51, s12, v49
	v_add_f16_e32 v51, v37, v43
	v_fma_f16 v48, v44, s12, v61
	v_fma_f16 v35, v44, s12, v35
	v_add_f16_e32 v44, v16, v37
	v_fma_f16 v16, v51, -0.5, v16
	v_add_f16_e32 v44, v44, v40
	v_fma_f16 v51, v47, s9, v16
	v_sub_f16_e32 v37, v40, v37
	v_sub_f16_e32 v40, v41, v43
	v_fma_f16 v16, v47, s13, v16
	v_fma_f16 v51, v45, s14, v51
	v_add_f16_e32 v37, v37, v40
	v_fma_f16 v16, v45, s8, v16
	v_fma_f16 v40, v37, s12, v51
	;; [unrolled: 1-line block ×3, first 2 shown]
	v_add_f16_e32 v16, v17, v18
	v_add_f16_e32 v16, v16, v19
	;; [unrolled: 1-line block ×6, first 2 shown]
	v_fma_f16 v16, v16, -0.5, v17
	v_sub_f16_e32 v38, v38, v46
	v_add_f16_e32 v44, v44, v43
	v_fma_f16 v43, v38, s13, v16
	v_sub_f16_e32 v39, v39, v42
	v_fma_f16 v42, v39, s14, v43
	v_sub_f16_e32 v43, v18, v19
	v_sub_f16_e32 v45, v36, v20
	v_fma_f16 v16, v38, s9, v16
	v_add_f16_e32 v43, v43, v45
	v_fma_f16 v16, v39, s8, v16
	v_fma_f16 v42, v43, s12, v42
	;; [unrolled: 1-line block ×3, first 2 shown]
	v_add_f16_e32 v43, v18, v36
	v_fma_f16 v17, v43, -0.5, v17
	v_fma_f16 v43, v39, s9, v17
	v_sub_f16_e32 v18, v19, v18
	v_sub_f16_e32 v19, v20, v36
	v_fma_f16 v17, v39, s13, v17
	v_fma_f16 v43, v38, s14, v43
	v_add_f16_e32 v18, v18, v19
	v_fma_f16 v17, v38, s8, v17
	v_fma_f16 v19, v18, s12, v43
	;; [unrolled: 1-line block ×3, first 2 shown]
	s_waitcnt lgkmcnt(0)
	s_barrier
	ds_write_b16 v57, v60
	ds_write_b16 v57, v55 offset:102
	ds_write_b16 v57, v48 offset:204
	ds_write_b16 v57, v35 offset:306
	ds_write_b16 v57, v56 offset:408
	ds_write_b16 v58, v44
	ds_write_b16 v58, v50 offset:102
	ds_write_b16 v58, v40 offset:204
	ds_write_b16 v58, v37 offset:306
	ds_write_b16 v58, v49 offset:408
	;; [unrolled: 5-line block ×3, first 2 shown]
	s_waitcnt lgkmcnt(0)
	s_barrier
	ds_read_u16 v35, v0
	ds_read_u16 v36, v0 offset:2040
	ds_read_u16 v44, v0 offset:1768
	;; [unrolled: 1-line block ×13, first 2 shown]
                                        ; implicit-def: $vgpr17
                                        ; implicit-def: $vgpr18
                                        ; implicit-def: $vgpr19
                                        ; implicit-def: $vgpr20
	s_and_saveexec_b64 s[6:7], s[0:1]
	s_cbranch_execz .LBB0_19
; %bb.18:
	ds_read_u16 v7, v0 offset:986
	ds_read_u16 v49, v0 offset:1496
	;; [unrolled: 1-line block ×5, first 2 shown]
	ds_read_u16 v16, v1
	ds_read_u16 v18, v0 offset:3536
	s_mov_b32 s8, 0x5040100
	s_waitcnt lgkmcnt(5)
	v_perm_b32 v7, v49, v7, s8
.LBB0_19:
	s_or_b64 exec, exec, s[6:7]
	s_and_saveexec_b64 s[6:7], vcc
	s_cbranch_execz .LBB0_22
; %bb.20:
	v_mul_u32_u24_e32 v0, 6, v10
	v_lshlrev_b32_e32 v0, 2, v0
	global_load_dwordx4 v[50:53], v0, s[4:5] offset:952
	global_load_dwordx2 v[58:59], v0, s[4:5] offset:968
	v_mul_lo_u32 v49, s3, v4
	v_mul_lo_u32 v5, s2, v5
	v_mad_u64_u32 v[0:1], s[2:3], s2, v4, 0
	v_mul_u32_u24_e32 v4, 6, v8
	v_add3_u32 v1, v1, v5, v49
	v_lshlrev_b32_e32 v49, 2, v4
	global_load_dwordx4 v[54:57], v49, s[4:5] offset:952
	global_load_dwordx2 v[4:5], v49, s[4:5] offset:968
	s_mov_b32 s3, 0xb574
	s_movk_i32 s14, 0x3a52
	s_mov_b32 s2, 0xb70e
	s_mov_b32 s8, 0xbb00
	s_movk_i32 s9, 0x3574
	s_mov_b32 s6, 0xbcab
	s_mov_b32 s12, 0xb9e0
	s_movk_i32 s13, 0x39e0
	v_lshl_add_u64 v[0:1], v[0:1], 2, s[10:11]
	v_lshl_add_u64 v[0:1], v[2:3], 2, v[0:1]
	s_movk_i32 s7, 0x2b26
	s_waitcnt vmcnt(3)
	v_lshrrev_b32_e32 v49, 16, v50
	v_lshrrev_b32_e32 v60, 16, v51
	;; [unrolled: 1-line block ×4, first 2 shown]
	v_mul_f16_e32 v63, v31, v50
	s_waitcnt vmcnt(2)
	v_lshrrev_b32_e32 v64, 16, v58
	v_lshrrev_b32_e32 v65, 16, v59
	v_mul_f16_e32 v66, v33, v59
	v_mul_f16_e32 v67, v34, v53
	;; [unrolled: 1-line block ×5, first 2 shown]
	s_waitcnt lgkmcnt(7)
	v_fma_f16 v63, v45, v49, v63
	s_waitcnt lgkmcnt(4)
	v_fma_f16 v66, v47, v65, v66
	;; [unrolled: 2-line block ×3, first 2 shown]
	v_fma_f16 v68, v44, v61, v68
	v_fma_f16 v69, v43, v60, v69
	;; [unrolled: 1-line block ×3, first 2 shown]
	v_mul_f16_e32 v33, v33, v65
	v_mul_f16_e32 v31, v31, v49
	;; [unrolled: 1-line block ×6, first 2 shown]
	v_sub_f16_e32 v60, v67, v68
	v_sub_f16_e32 v61, v69, v70
	v_fma_f16 v33, v47, v59, -v33
	v_fma_f16 v31, v45, v50, -v31
	v_fma_f16 v30, v44, v52, -v30
	v_fma_f16 v34, v48, v53, -v34
	v_fma_f16 v32, v46, v58, -v32
	v_fma_f16 v29, v43, v51, -v29
	v_add_f16_e32 v43, v63, v66
	v_add_f16_e32 v44, v67, v68
	;; [unrolled: 1-line block ×3, first 2 shown]
	v_sub_f16_e32 v49, v63, v66
	v_sub_f16_e32 v47, v60, v61
	v_add_f16_e32 v48, v60, v61
	v_add_f16_e32 v50, v31, v33
	;; [unrolled: 1-line block ×4, first 2 shown]
	v_sub_f16_e32 v58, v44, v45
	v_add_f16_e32 v59, v43, v45
	v_sub_f16_e32 v31, v31, v33
	v_sub_f16_e32 v30, v34, v30
	;; [unrolled: 1-line block ×5, first 2 shown]
	v_mul_f16_e32 v32, 0x3846, v47
	v_add_f16_e32 v33, v49, v48
	v_add_f16_e32 v48, v50, v52
	v_mul_f16_e32 v58, 0x2b26, v58
	v_add_f16_e32 v44, v44, v59
	v_sub_f16_e32 v59, v31, v30
	v_sub_f16_e32 v62, v30, v29
	v_add_f16_e32 v30, v30, v29
	v_sub_f16_e32 v29, v29, v31
	v_sub_f16_e32 v34, v50, v51
	;; [unrolled: 1-line block ×3, first 2 shown]
	v_mul_f16_e32 v60, 0x3a52, v53
	v_fma_f16 v63, v46, s3, v32
	v_add_f16_e32 v48, v51, v48
	v_fma_f16 v51, v53, s14, v58
	v_mul_f16_e32 v53, 0x3846, v62
	v_add_f16_e32 v30, v31, v30
	v_sub_f16_e32 v49, v61, v49
	v_mul_f16_e32 v31, 0xbb00, v29
	v_mul_f16_e32 v64, 0x3a52, v34
	v_add_f16_e32 v28, v28, v44
	v_fma_f16 v62, v33, s2, v63
	v_add_f16_e32 v42, v42, v48
	v_fma_f16 v63, v59, s3, v53
	v_mul_f16_e32 v61, 0xbb00, v49
	v_sub_f16_e32 v50, v52, v50
	v_sub_f16_e32 v43, v45, v43
	v_fma_f16 v31, v59, s9, -v31
	v_fma_f16 v29, v29, s8, -v53
	v_mul_f16_e32 v47, 0x2b26, v47
	v_fma_f16 v44, v44, s6, v28
	v_fma_f16 v48, v48, s6, v42
	;; [unrolled: 1-line block ×3, first 2 shown]
	v_fma_f16 v46, v46, s9, -v61
	v_fma_f16 v52, v50, s12, -v64
	;; [unrolled: 1-line block ×3, first 2 shown]
	v_fma_f16 v31, v30, s2, v31
	v_fma_f16 v29, v30, s2, v29
	v_fma_f16 v30, v43, s13, -v58
	v_fma_f16 v34, v34, s14, v47
	v_add_f16_e32 v51, v51, v44
	v_fma_f16 v46, v33, s2, v46
	v_add_f16_e32 v52, v52, v48
	v_add_f16_e32 v45, v45, v44
	v_fma_f16 v47, v50, s13, -v47
	v_fma_f16 v32, v49, s8, -v32
	v_add_f16_e32 v30, v30, v44
	v_sub_f16_e32 v66, v51, v63
	v_add_f16_e32 v61, v46, v52
	v_sub_f16_e32 v59, v45, v31
	v_add_f16_e32 v47, v47, v48
	v_fma_f16 v32, v33, s2, v32
	v_add_f16_e32 v43, v29, v30
	v_sub_f16_e32 v29, v30, v29
	v_sub_f16_e32 v30, v52, v46
	v_add_f16_e32 v31, v31, v45
	v_add_f16_e32 v44, v63, v51
	s_waitcnt vmcnt(1)
	v_lshrrev_b32_e32 v45, 16, v54
	v_lshrrev_b32_e32 v46, 16, v55
	s_waitcnt vmcnt(0)
	v_lshrrev_b32_e32 v50, 16, v4
	v_lshrrev_b32_e32 v51, 16, v5
	v_add_f16_e32 v34, v34, v48
	v_sub_f16_e32 v33, v47, v32
	v_add_f16_e32 v32, v32, v47
	v_lshrrev_b32_e32 v47, 16, v56
	v_lshrrev_b32_e32 v48, 16, v57
	v_mul_f16_e32 v49, v26, v54
	v_mul_f16_e32 v52, v27, v5
	;; [unrolled: 1-line block ×10, first 2 shown]
	v_fma_f16 v5, v41, v5, -v27
	v_fma_f16 v26, v40, v54, -v26
	v_mul_f16_e32 v24, v24, v47
	v_mul_f16_e32 v22, v22, v48
	v_fma_f16 v4, v39, v4, -v25
	v_fma_f16 v23, v37, v55, -v23
	v_fma_f16 v49, v40, v45, v49
	v_fma_f16 v52, v41, v51, v52
	;; [unrolled: 1-line block ×4, first 2 shown]
	v_add_f16_e32 v27, v26, v5
	v_fma_f16 v24, v38, v56, -v24
	v_fma_f16 v22, v36, v57, -v22
	v_add_f16_e32 v25, v23, v4
	v_fma_f16 v58, v36, v48, v58
	v_fma_f16 v60, v38, v47, v60
	v_add_f16_e32 v36, v22, v24
	v_add_f16_e32 v39, v27, v25
	;; [unrolled: 1-line block ×4, first 2 shown]
	v_sub_f16_e32 v5, v26, v5
	v_sub_f16_e32 v22, v22, v24
	;; [unrolled: 1-line block ×3, first 2 shown]
	v_add_f16_e32 v65, v62, v34
	v_sub_f16_e32 v34, v34, v62
	v_sub_f16_e32 v62, v58, v60
	v_sub_f16_e32 v68, v64, v67
	v_sub_f16_e32 v38, v27, v36
	v_sub_f16_e32 v37, v36, v25
	v_add_f16_e32 v36, v36, v39
	v_add_f16_e32 v45, v58, v60
	;; [unrolled: 1-line block ×3, first 2 shown]
	v_sub_f16_e32 v24, v5, v22
	v_sub_f16_e32 v23, v22, v4
	v_add_f16_e32 v22, v22, v4
	v_sub_f16_e32 v4, v4, v5
	v_sub_f16_e32 v53, v49, v52
	v_sub_f16_e32 v69, v62, v68
	v_mul_f16_e32 v40, 0x3a52, v38
	v_mul_f16_e32 v37, 0x2b26, v37
	v_add_f16_e32 v35, v35, v36
	v_sub_f16_e32 v46, v41, v45
	v_sub_f16_e32 v49, v45, v48
	v_add_f16_e32 v45, v45, v50
	v_mul_f16_e32 v23, 0x3846, v23
	v_add_f16_e32 v22, v5, v22
	v_sub_f16_e32 v25, v25, v27
	v_mul_f16_e32 v5, 0xbb00, v4
	v_sub_f16_e32 v63, v53, v62
	v_mul_f16_e32 v69, 0x3846, v69
	v_add_f16_e32 v62, v62, v68
	v_fma_f16 v38, v38, s14, v37
	v_fma_f16 v36, v36, s6, v35
	v_mul_f16_e32 v47, 0x3a52, v46
	v_mul_f16_e32 v49, 0x2b26, v49
	v_add_f16_e32 v21, v21, v45
	v_fma_f16 v26, v24, s3, v23
	v_sub_f16_e32 v51, v68, v53
	v_fma_f16 v27, v25, s12, -v40
	v_sub_f16_e32 v41, v48, v41
	v_fma_f16 v5, v24, s9, -v5
	v_fma_f16 v25, v25, s13, -v37
	;; [unrolled: 1-line block ×3, first 2 shown]
	v_add_f16_e32 v62, v53, v62
	v_add_f16_e32 v38, v38, v36
	v_fma_f16 v45, v45, s6, v21
	v_fma_f16 v26, v22, s2, v26
	v_add_f16_e32 v27, v27, v36
	v_fma_f16 v47, v41, s12, -v47
	v_fma_f16 v5, v22, s2, v5
	v_add_f16_e32 v25, v25, v36
	v_fma_f16 v36, v51, s8, -v69
	v_fma_f16 v4, v22, s2, v4
	v_fma_f16 v22, v41, s13, -v49
	v_fma_f16 v46, v46, s14, v49
	v_add_f16_e32 v47, v47, v45
	v_fma_f16 v36, v62, s2, v36
	v_add_f16_e32 v22, v22, v45
	v_add_f16_e32 v46, v46, v45
	v_sub_f16_e32 v24, v47, v5
	v_sub_f16_e32 v37, v25, v36
	v_add_f16_e32 v41, v4, v22
	v_add_f16_e32 v25, v36, v25
	v_sub_f16_e32 v36, v22, v4
	v_add_f16_e32 v45, v5, v47
	v_mad_u64_u32 v[4:5], s[14:15], s16, v8, 0
	v_mov_b32_e32 v22, v5
	v_mad_u64_u32 v[22:23], s[14:15], s17, v8, v[22:23]
	v_mov_b32_e32 v5, v22
	v_lshl_add_u64 v[2:3], v[4:5], 2, v[0:1]
	v_pack_b32_f16 v4, v21, v35
	v_add_u32_e32 v5, 0xff, v8
	global_store_dword v[2:3], v4, off
	v_mad_u64_u32 v[2:3], s[10:11], s16, v5, 0
	v_fma_f16 v70, v63, s3, v69
	v_mov_b32_e32 v4, v3
	v_fma_f16 v70, v62, s2, v70
	v_mad_u64_u32 v[4:5], s[10:11], s17, v5, v[4:5]
	v_add_f16_e32 v39, v70, v38
	v_sub_f16_e32 v50, v46, v26
	v_sub_f16_e32 v38, v38, v70
	v_add_f16_e32 v26, v26, v46
	v_mov_b32_e32 v3, v4
	v_lshl_add_u64 v[2:3], v[2:3], 2, v[0:1]
	v_pack_b32_f16 v4, v26, v38
	v_add_u32_e32 v5, 0x1fe, v8
	v_mul_f16_e32 v52, 0xbb00, v51
	global_store_dword v[2:3], v4, off
	v_mad_u64_u32 v[2:3], s[10:11], s16, v5, 0
	v_fma_f16 v52, v63, s9, -v52
	v_mov_b32_e32 v4, v3
	v_fma_f16 v52, v62, s2, v52
	v_mad_u64_u32 v[4:5], s[10:11], s17, v5, v[4:5]
	v_add_f16_e32 v40, v52, v27
	v_sub_f16_e32 v27, v27, v52
	v_mov_b32_e32 v3, v4
	v_lshl_add_u64 v[2:3], v[2:3], 2, v[0:1]
	v_pack_b32_f16 v4, v45, v27
	v_add_u32_e32 v5, 0x2fd, v8
	global_store_dword v[2:3], v4, off
	v_mad_u64_u32 v[2:3], s[10:11], s16, v5, 0
	v_mov_b32_e32 v4, v3
	v_mad_u64_u32 v[4:5], s[10:11], s17, v5, v[4:5]
	v_mov_b32_e32 v3, v4
	v_lshl_add_u64 v[2:3], v[2:3], 2, v[0:1]
	v_pack_b32_f16 v4, v36, v25
	v_add_u32_e32 v5, 0x3fc, v8
	global_store_dword v[2:3], v4, off
	v_mad_u64_u32 v[2:3], s[10:11], s16, v5, 0
	v_mov_b32_e32 v4, v3
	v_mad_u64_u32 v[4:5], s[10:11], s17, v5, v[4:5]
	;; [unrolled: 8-line block ×4, first 2 shown]
	v_mov_b32_e32 v3, v4
	v_lshl_add_u64 v[2:3], v[2:3], 2, v[0:1]
	v_pack_b32_f16 v4, v50, v39
	s_mov_b32 s10, 0x80808081
	global_store_dword v[2:3], v4, off
	v_mul_hi_u32 v2, v10, s10
	s_movk_i32 s14, 0x5fa
	v_lshrrev_b32_e32 v2, 7, v2
	v_mad_u32_u24 v10, v2, s14, v10
	v_mad_u64_u32 v[2:3], s[10:11], s16, v10, 0
	v_mov_b32_e32 v4, v3
	v_mad_u64_u32 v[4:5], s[10:11], s17, v10, v[4:5]
	v_mov_b32_e32 v3, v4
	v_lshl_add_u64 v[2:3], v[2:3], 2, v[0:1]
	v_pack_b32_f16 v4, v28, v42
	v_add_u32_e32 v5, 0xff, v10
	global_store_dword v[2:3], v4, off
	v_mad_u64_u32 v[2:3], s[10:11], s16, v5, 0
	v_mov_b32_e32 v4, v3
	v_mad_u64_u32 v[4:5], s[10:11], s17, v5, v[4:5]
	v_mov_b32_e32 v3, v4
	v_lshl_add_u64 v[2:3], v[2:3], 2, v[0:1]
	v_pack_b32_f16 v4, v44, v34
	v_add_u32_e32 v5, 0x1fe, v10
	global_store_dword v[2:3], v4, off
	;; [unrolled: 8-line block ×6, first 2 shown]
	v_mad_u64_u32 v[2:3], s[10:11], s16, v5, 0
	v_mov_b32_e32 v4, v3
	v_mad_u64_u32 v[4:5], s[10:11], s17, v5, v[4:5]
	v_mov_b32_e32 v3, v4
	v_lshl_add_u64 v[2:3], v[2:3], 2, v[0:1]
	v_pack_b32_f16 v4, v66, v65
	global_store_dword v[2:3], v4, off
	s_and_b64 exec, exec, s[0:1]
	s_cbranch_execz .LBB0_22
; %bb.21:
	v_subrev_u32_e32 v2, 17, v8
	v_cndmask_b32_e64 v2, v2, v9, s[0:1]
	v_mul_i32_i24_e32 v2, 6, v2
	v_mov_b32_e32 v3, 0
	v_lshl_add_u64 v[22:23], v[2:3], 2, s[4:5]
	global_load_dwordx4 v[2:5], v[22:23], off offset:952
	global_load_dwordx2 v[24:25], v[22:23], off offset:968
	v_lshrrev_b32_e32 v9, 16, v6
	v_lshrrev_b32_e32 v10, 16, v7
	s_waitcnt vmcnt(1)
	v_mul_f16_sdwa v21, v7, v2 dst_sel:DWORD dst_unused:UNUSED_PAD src0_sel:DWORD src1_sel:WORD_1
	v_mul_f16_sdwa v22, v6, v2 dst_sel:DWORD dst_unused:UNUSED_PAD src0_sel:DWORD src1_sel:WORD_1
	;; [unrolled: 1-line block ×6, first 2 shown]
	s_waitcnt vmcnt(0)
	v_mul_f16_sdwa v31, v19, v24 dst_sel:DWORD dst_unused:UNUSED_PAD src0_sel:DWORD src1_sel:WORD_1
	v_mul_f16_sdwa v32, v14, v24 dst_sel:DWORD dst_unused:UNUSED_PAD src0_sel:DWORD src1_sel:WORD_1
	;; [unrolled: 1-line block ×6, first 2 shown]
	v_fma_f16 v6, v6, v2, v21
	v_fma_f16 v2, v7, v2, -v22
	v_fma_f16 v7, v9, v3, v23
	v_fma_f16 v3, v10, v3, -v26
	v_fma_f16 v9, v15, v4, v27
	v_fma_f16 v10, v12, v5, v29
	;; [unrolled: 1-line block ×3, first 2 shown]
	v_fma_f16 v14, v19, v24, -v32
	v_fma_f16 v13, v13, v25, v33
	v_fma_f16 v15, v18, v25, -v34
	v_fma_f16 v4, v20, v4, -v28
	;; [unrolled: 1-line block ×3, first 2 shown]
	v_add_f16_e32 v17, v6, v13
	v_add_f16_e32 v18, v2, v15
	v_sub_f16_e32 v6, v6, v13
	v_sub_f16_e32 v2, v2, v15
	v_add_f16_e32 v13, v7, v12
	v_add_f16_e32 v15, v3, v14
	v_sub_f16_e32 v7, v7, v12
	v_sub_f16_e32 v3, v3, v14
	;; [unrolled: 4-line block ×4, first 2 shown]
	v_sub_f16_e32 v17, v17, v12
	v_sub_f16_e32 v18, v18, v14
	;; [unrolled: 1-line block ×4, first 2 shown]
	v_add_f16_e32 v21, v9, v7
	v_add_f16_e32 v22, v4, v3
	v_sub_f16_e32 v23, v9, v7
	v_sub_f16_e32 v24, v4, v3
	;; [unrolled: 1-line block ×3, first 2 shown]
	v_add_f16_e32 v5, v12, v5
	v_add_f16_e32 v10, v14, v10
	v_sub_f16_e32 v9, v6, v9
	v_sub_f16_e32 v4, v2, v4
	;; [unrolled: 1-line block ×3, first 2 shown]
	v_add_f16_e32 v6, v21, v6
	v_add_f16_e32 v2, v22, v2
	v_mul_f16_e32 v12, 0x3a52, v17
	v_mul_f16_e32 v14, 0x3a52, v18
	;; [unrolled: 1-line block ×7, first 2 shown]
	v_add_f16_e32 v11, v11, v5
	v_add_f16_e32 v16, v16, v10
	v_mul_f16_e32 v23, 0xbb00, v7
	v_fma_f16 v13, v13, s7, v12
	v_fma_f16 v15, v15, s7, v14
	v_fma_f16 v17, v19, s13, -v17
	v_fma_f16 v18, v20, s13, -v18
	;; [unrolled: 1-line block ×4, first 2 shown]
	v_fma_f16 v20, v4, s3, v22
	v_fma_f16 v7, v7, s8, -v21
	v_fma_f16 v3, v3, s8, -v22
	;; [unrolled: 1-line block ×3, first 2 shown]
	v_fma_f16 v5, v5, s6, v11
	v_fma_f16 v10, v10, s6, v16
	v_add_f16_e32 v13, v13, v5
	v_add_f16_e32 v15, v15, v10
	v_add_f16_e32 v17, v17, v5
	v_add_f16_e32 v18, v18, v10
	v_add_f16_e32 v5, v12, v5
	v_add_f16_e32 v10, v14, v10
	v_fma_f16 v14, v2, s2, v20
	v_fma_f16 v7, v6, s2, v7
	v_fma_f16 v3, v2, s2, v3
	v_fma_f16 v2, v2, s2, v4
	v_fma_f16 v19, v9, s3, v21
	v_fma_f16 v9, v9, s9, -v23
	v_add_f16_e32 v20, v2, v5
	v_add_f16_e32 v23, v7, v18
	v_sub_f16_e32 v7, v18, v7
	v_sub_f16_e32 v18, v5, v2
	v_add_u32_e32 v5, 0xee, v8
	v_sub_f16_e32 v22, v17, v3
	v_add_f16_e32 v17, v3, v17
	v_mad_u64_u32 v[2:3], s[0:1], s16, v5, 0
	v_mov_b32_e32 v4, v3
	v_mad_u64_u32 v[4:5], s[0:1], s17, v5, v[4:5]
	v_mov_b32_e32 v3, v4
	v_lshl_add_u64 v[2:3], v[2:3], 2, v[0:1]
	v_pack_b32_f16 v4, v11, v16
	v_add_u32_e32 v5, 0x1ed, v8
	global_store_dword v[2:3], v4, off
	v_mad_u64_u32 v[2:3], s[0:1], s16, v5, 0
	v_mov_b32_e32 v4, v3
	v_fma_f16 v12, v6, s2, v19
	v_mad_u64_u32 v[4:5], s[0:1], s17, v5, v[4:5]
	v_fma_f16 v6, v6, s2, v9
	v_add_f16_e32 v9, v14, v13
	v_sub_f16_e32 v19, v15, v12
	v_mov_b32_e32 v3, v4
	v_lshl_add_u64 v[2:3], v[2:3], 2, v[0:1]
	v_pack_b32_f16 v4, v9, v19
	v_add_u32_e32 v5, 0x2ec, v8
	global_store_dword v[2:3], v4, off
	v_mad_u64_u32 v[2:3], s[0:1], s16, v5, 0
	v_mov_b32_e32 v4, v3
	v_mad_u64_u32 v[4:5], s[0:1], s17, v5, v[4:5]
	v_sub_f16_e32 v21, v10, v6
	v_mov_b32_e32 v3, v4
	v_lshl_add_u64 v[2:3], v[2:3], 2, v[0:1]
	v_pack_b32_f16 v4, v20, v21
	v_add_u32_e32 v5, 0x3eb, v8
	global_store_dword v[2:3], v4, off
	v_mad_u64_u32 v[2:3], s[0:1], s16, v5, 0
	v_mov_b32_e32 v4, v3
	v_mad_u64_u32 v[4:5], s[0:1], s17, v5, v[4:5]
	v_mov_b32_e32 v3, v4
	v_lshl_add_u64 v[2:3], v[2:3], 2, v[0:1]
	v_pack_b32_f16 v4, v22, v23
	v_add_u32_e32 v5, 0x4ea, v8
	global_store_dword v[2:3], v4, off
	v_mad_u64_u32 v[2:3], s[0:1], s16, v5, 0
	v_mov_b32_e32 v4, v3
	v_mad_u64_u32 v[4:5], s[0:1], s17, v5, v[4:5]
	;; [unrolled: 8-line block ×3, first 2 shown]
	v_add_f16_e32 v6, v6, v10
	v_mov_b32_e32 v3, v4
	v_lshl_add_u64 v[2:3], v[2:3], 2, v[0:1]
	v_pack_b32_f16 v4, v18, v6
	v_add_u32_e32 v5, 0x6e8, v8
	global_store_dword v[2:3], v4, off
	v_mad_u64_u32 v[2:3], s[0:1], s16, v5, 0
	v_mov_b32_e32 v4, v3
	v_mad_u64_u32 v[4:5], s[0:1], s17, v5, v[4:5]
	v_sub_f16_e32 v10, v13, v14
	v_add_f16_e32 v12, v12, v15
	v_mov_b32_e32 v3, v4
	v_lshl_add_u64 v[0:1], v[2:3], 2, v[0:1]
	v_pack_b32_f16 v2, v10, v12
	global_store_dword v[0:1], v2, off
.LBB0_22:
	s_endpgm
	.section	.rodata,"a",@progbits
	.p2align	6, 0x0
	.amdhsa_kernel fft_rtc_back_len1785_factors_17_3_5_7_wgs_119_tpt_119_halfLds_half_op_CI_CI_sbrr_dirReg
		.amdhsa_group_segment_fixed_size 0
		.amdhsa_private_segment_fixed_size 0
		.amdhsa_kernarg_size 104
		.amdhsa_user_sgpr_count 2
		.amdhsa_user_sgpr_dispatch_ptr 0
		.amdhsa_user_sgpr_queue_ptr 0
		.amdhsa_user_sgpr_kernarg_segment_ptr 1
		.amdhsa_user_sgpr_dispatch_id 0
		.amdhsa_user_sgpr_kernarg_preload_length 0
		.amdhsa_user_sgpr_kernarg_preload_offset 0
		.amdhsa_user_sgpr_private_segment_size 0
		.amdhsa_uses_dynamic_stack 0
		.amdhsa_enable_private_segment 0
		.amdhsa_system_sgpr_workgroup_id_x 1
		.amdhsa_system_sgpr_workgroup_id_y 0
		.amdhsa_system_sgpr_workgroup_id_z 0
		.amdhsa_system_sgpr_workgroup_info 0
		.amdhsa_system_vgpr_workitem_id 0
		.amdhsa_next_free_vgpr 101
		.amdhsa_next_free_sgpr 52
		.amdhsa_accum_offset 104
		.amdhsa_reserve_vcc 1
		.amdhsa_float_round_mode_32 0
		.amdhsa_float_round_mode_16_64 0
		.amdhsa_float_denorm_mode_32 3
		.amdhsa_float_denorm_mode_16_64 3
		.amdhsa_dx10_clamp 1
		.amdhsa_ieee_mode 1
		.amdhsa_fp16_overflow 0
		.amdhsa_tg_split 0
		.amdhsa_exception_fp_ieee_invalid_op 0
		.amdhsa_exception_fp_denorm_src 0
		.amdhsa_exception_fp_ieee_div_zero 0
		.amdhsa_exception_fp_ieee_overflow 0
		.amdhsa_exception_fp_ieee_underflow 0
		.amdhsa_exception_fp_ieee_inexact 0
		.amdhsa_exception_int_div_zero 0
	.end_amdhsa_kernel
	.text
.Lfunc_end0:
	.size	fft_rtc_back_len1785_factors_17_3_5_7_wgs_119_tpt_119_halfLds_half_op_CI_CI_sbrr_dirReg, .Lfunc_end0-fft_rtc_back_len1785_factors_17_3_5_7_wgs_119_tpt_119_halfLds_half_op_CI_CI_sbrr_dirReg
                                        ; -- End function
	.section	.AMDGPU.csdata,"",@progbits
; Kernel info:
; codeLenInByte = 15300
; NumSgprs: 58
; NumVgprs: 101
; NumAgprs: 0
; TotalNumVgprs: 101
; ScratchSize: 0
; MemoryBound: 0
; FloatMode: 240
; IeeeMode: 1
; LDSByteSize: 0 bytes/workgroup (compile time only)
; SGPRBlocks: 7
; VGPRBlocks: 12
; NumSGPRsForWavesPerEU: 58
; NumVGPRsForWavesPerEU: 101
; AccumOffset: 104
; Occupancy: 4
; WaveLimiterHint : 1
; COMPUTE_PGM_RSRC2:SCRATCH_EN: 0
; COMPUTE_PGM_RSRC2:USER_SGPR: 2
; COMPUTE_PGM_RSRC2:TRAP_HANDLER: 0
; COMPUTE_PGM_RSRC2:TGID_X_EN: 1
; COMPUTE_PGM_RSRC2:TGID_Y_EN: 0
; COMPUTE_PGM_RSRC2:TGID_Z_EN: 0
; COMPUTE_PGM_RSRC2:TIDIG_COMP_CNT: 0
; COMPUTE_PGM_RSRC3_GFX90A:ACCUM_OFFSET: 25
; COMPUTE_PGM_RSRC3_GFX90A:TG_SPLIT: 0
	.text
	.p2alignl 6, 3212836864
	.fill 256, 4, 3212836864
	.type	__hip_cuid_93fbfbedea098aec,@object ; @__hip_cuid_93fbfbedea098aec
	.section	.bss,"aw",@nobits
	.globl	__hip_cuid_93fbfbedea098aec
__hip_cuid_93fbfbedea098aec:
	.byte	0                               ; 0x0
	.size	__hip_cuid_93fbfbedea098aec, 1

	.ident	"AMD clang version 19.0.0git (https://github.com/RadeonOpenCompute/llvm-project roc-6.4.0 25133 c7fe45cf4b819c5991fe208aaa96edf142730f1d)"
	.section	".note.GNU-stack","",@progbits
	.addrsig
	.addrsig_sym __hip_cuid_93fbfbedea098aec
	.amdgpu_metadata
---
amdhsa.kernels:
  - .agpr_count:     0
    .args:
      - .actual_access:  read_only
        .address_space:  global
        .offset:         0
        .size:           8
        .value_kind:     global_buffer
      - .offset:         8
        .size:           8
        .value_kind:     by_value
      - .actual_access:  read_only
        .address_space:  global
        .offset:         16
        .size:           8
        .value_kind:     global_buffer
      - .actual_access:  read_only
        .address_space:  global
        .offset:         24
        .size:           8
        .value_kind:     global_buffer
      - .actual_access:  read_only
        .address_space:  global
        .offset:         32
        .size:           8
        .value_kind:     global_buffer
      - .offset:         40
        .size:           8
        .value_kind:     by_value
      - .actual_access:  read_only
        .address_space:  global
        .offset:         48
        .size:           8
        .value_kind:     global_buffer
      - .actual_access:  read_only
        .address_space:  global
        .offset:         56
        .size:           8
        .value_kind:     global_buffer
      - .offset:         64
        .size:           4
        .value_kind:     by_value
      - .actual_access:  read_only
        .address_space:  global
        .offset:         72
        .size:           8
        .value_kind:     global_buffer
      - .actual_access:  read_only
        .address_space:  global
        .offset:         80
        .size:           8
        .value_kind:     global_buffer
      - .actual_access:  read_only
        .address_space:  global
        .offset:         88
        .size:           8
        .value_kind:     global_buffer
      - .actual_access:  write_only
        .address_space:  global
        .offset:         96
        .size:           8
        .value_kind:     global_buffer
    .group_segment_fixed_size: 0
    .kernarg_segment_align: 8
    .kernarg_segment_size: 104
    .language:       OpenCL C
    .language_version:
      - 2
      - 0
    .max_flat_workgroup_size: 119
    .name:           fft_rtc_back_len1785_factors_17_3_5_7_wgs_119_tpt_119_halfLds_half_op_CI_CI_sbrr_dirReg
    .private_segment_fixed_size: 0
    .sgpr_count:     58
    .sgpr_spill_count: 0
    .symbol:         fft_rtc_back_len1785_factors_17_3_5_7_wgs_119_tpt_119_halfLds_half_op_CI_CI_sbrr_dirReg.kd
    .uniform_work_group_size: 1
    .uses_dynamic_stack: false
    .vgpr_count:     101
    .vgpr_spill_count: 0
    .wavefront_size: 64
amdhsa.target:   amdgcn-amd-amdhsa--gfx950
amdhsa.version:
  - 1
  - 2
...

	.end_amdgpu_metadata
